;; amdgpu-corpus repo=ROCm/Tensile kind=harvested arch=n/a opt=n/a

/******************************************/
/* Function Prefix                        */
/******************************************/



/******************************************/
/* Begin Kernel                           */
/******************************************/

// Component.Signature.SignatureDefault
.amdgcn_target "amdgcn-amd-amdhsa--gfx942"
.text
.protected Cijk_Alik_Bljk_BBS_BH_MT192x256x64_MI16x16x16x1_SN_1LDSB1_APM1_AF0EM1_AF1EM1_AMAS0_ASE_ASGT_ASLT_ASM_ASAE01_ASCE01_ASEM1_BL1_BS1_CLR0_DTVA0_DTVB0_ETSP_EPS1_ELFLR4_EMLL0_FSSC10_FL0_GLVWA4_GLVWB8_GRCGA1_GRPM1_GRVWn1_GSU1_GSUASB_GLS0_IU1_K1_LBSPPA128_LBSPPB128_LPA4_LPB8_LRVW4_LWPMn1_MIAV0_MKFGSU256_NTA0_NTB0_NTC3_NTD3_NEPBS0_NLCA1_NLCB1_ONLL1_PGR2_PLR5_PKA0_SIA3_SLW1_SS1_SU0_SUM0_SUS0_SPO1_SRVW0_SSO6_SVW1_TSGRA0_TSGRB0_TT6_128_TLDS1_UMLDSA1_UMLDSB1_USFGROn1_VAW1_VSn1_VW1_VWB1_VFLRP0_WSGRA0_WSGRB0_WG32_8_1_WGM30
.globl Cijk_Alik_Bljk_BBS_BH_MT192x256x64_MI16x16x16x1_SN_1LDSB1_APM1_AF0EM1_AF1EM1_AMAS0_ASE_ASGT_ASLT_ASM_ASAE01_ASCE01_ASEM1_BL1_BS1_CLR0_DTVA0_DTVB0_ETSP_EPS1_ELFLR4_EMLL0_FSSC10_FL0_GLVWA4_GLVWB8_GRCGA1_GRPM1_GRVWn1_GSU1_GSUASB_GLS0_IU1_K1_LBSPPA128_LBSPPB128_LPA4_LPB8_LRVW4_LWPMn1_MIAV0_MKFGSU256_NTA0_NTB0_NTC3_NTD3_NEPBS0_NLCA1_NLCB1_ONLL1_PGR2_PLR5_PKA0_SIA3_SLW1_SS1_SU0_SUM0_SUS0_SPO1_SRVW0_SSO6_SVW1_TSGRA0_TSGRB0_TT6_128_TLDS1_UMLDSA1_UMLDSB1_USFGROn1_VAW1_VSn1_VW1_VWB1_VFLRP0_WSGRA0_WSGRB0_WG32_8_1_WGM30
.p2align 8
.type Cijk_Alik_Bljk_BBS_BH_MT192x256x64_MI16x16x16x1_SN_1LDSB1_APM1_AF0EM1_AF1EM1_AMAS0_ASE_ASGT_ASLT_ASM_ASAE01_ASCE01_ASEM1_BL1_BS1_CLR0_DTVA0_DTVB0_ETSP_EPS1_ELFLR4_EMLL0_FSSC10_FL0_GLVWA4_GLVWB8_GRCGA1_GRPM1_GRVWn1_GSU1_GSUASB_GLS0_IU1_K1_LBSPPA128_LBSPPB128_LPA4_LPB8_LRVW4_LWPMn1_MIAV0_MKFGSU256_NTA0_NTB0_NTC3_NTD3_NEPBS0_NLCA1_NLCB1_ONLL1_PGR2_PLR5_PKA0_SIA3_SLW1_SS1_SU0_SUM0_SUS0_SPO1_SRVW0_SSO6_SVW1_TSGRA0_TSGRB0_TT6_128_TLDS1_UMLDSA1_UMLDSB1_USFGROn1_VAW1_VSn1_VW1_VWB1_VFLRP0_WSGRA0_WSGRB0_WG32_8_1_WGM30,@function
.section .rodata,#alloc
.p2align 6
.amdhsa_kernel Cijk_Alik_Bljk_BBS_BH_MT192x256x64_MI16x16x16x1_SN_1LDSB1_APM1_AF0EM1_AF1EM1_AMAS0_ASE_ASGT_ASLT_ASM_ASAE01_ASCE01_ASEM1_BL1_BS1_CLR0_DTVA0_DTVB0_ETSP_EPS1_ELFLR4_EMLL0_FSSC10_FL0_GLVWA4_GLVWB8_GRCGA1_GRPM1_GRVWn1_GSU1_GSUASB_GLS0_IU1_K1_LBSPPA128_LBSPPB128_LPA4_LPB8_LRVW4_LWPMn1_MIAV0_MKFGSU256_NTA0_NTB0_NTC3_NTD3_NEPBS0_NLCA1_NLCB1_ONLL1_PGR2_PLR5_PKA0_SIA3_SLW1_SS1_SU0_SUM0_SUS0_SPO1_SRVW0_SSO6_SVW1_TSGRA0_TSGRB0_TT6_128_TLDS1_UMLDSA1_UMLDSB1_USFGROn1_VAW1_VSn1_VW1_VWB1_VFLRP0_WSGRA0_WSGRB0_WG32_8_1_WGM30
  .amdhsa_user_sgpr_kernarg_segment_ptr 1
  .amdhsa_user_sgpr_kernarg_preload_offset 0
  .amdhsa_user_sgpr_kernarg_preload_length 0
  .amdhsa_user_sgpr_count 2
  .amdhsa_accum_offset 256 // accvgpr offset
  .amdhsa_next_free_vgpr 448 // vgprs
  .amdhsa_next_free_sgpr 76 // sgprs
  .amdhsa_group_segment_fixed_size 62976 // lds bytes
  .amdhsa_private_segment_fixed_size 0
  .amdhsa_system_sgpr_workgroup_id_x 1
  .amdhsa_system_sgpr_workgroup_id_y 1
  .amdhsa_system_sgpr_workgroup_id_z 1
  .amdhsa_system_vgpr_workitem_id 0
  .amdhsa_float_denorm_mode_32 3
  .amdhsa_float_denorm_mode_16_64 3
.end_amdhsa_kernel
.text

/******************************************/
/* Optimizations and Config:              */
/******************************************/
/* ThreadTile= 24 x 8 */
/* SubGroup= 8 x 32 */
/* VectorWidthA=1 */
/* VectorWidthB=1 */
/* GlobalLoadVectorWidthA=4, GlobalLoadVectorWidthB=8 */
/* DirectToLdsA=False */
/* DirectToLdsB=False */
/* UseSgprForGRO=1 */
.amdgpu_metadata
---
amdhsa.version:
  - 1
  - 1
amdhsa.target: amdgcn-amd-amdhsa--gfx942
amdhsa.kernels:
  - .name: Cijk_Alik_Bljk_BBS_BH_MT192x256x64_MI16x16x16x1_SN_1LDSB1_APM1_AF0EM1_AF1EM1_AMAS0_ASE_ASGT_ASLT_ASM_ASAE01_ASCE01_ASEM1_BL1_BS1_CLR0_DTVA0_DTVB0_ETSP_EPS1_ELFLR4_EMLL0_FSSC10_FL0_GLVWA4_GLVWB8_GRCGA1_GRPM1_GRVWn1_GSU1_GSUASB_GLS0_IU1_K1_LBSPPA128_LBSPPB128_LPA4_LPB8_LRVW4_LWPMn1_MIAV0_MKFGSU256_NTA0_NTB0_NTC3_NTD3_NEPBS0_NLCA1_NLCB1_ONLL1_PGR2_PLR5_PKA0_SIA3_SLW1_SS1_SU0_SUM0_SUS0_SPO1_SRVW0_SSO6_SVW1_TSGRA0_TSGRB0_TT6_128_TLDS1_UMLDSA1_UMLDSB1_USFGROn1_VAW1_VSn1_VW1_VWB1_VFLRP0_WSGRA0_WSGRB0_WG32_8_1_WGM30
    .symbol: 'Cijk_Alik_Bljk_BBS_BH_MT192x256x64_MI16x16x16x1_SN_1LDSB1_APM1_AF0EM1_AF1EM1_AMAS0_ASE_ASGT_ASLT_ASM_ASAE01_ASCE01_ASEM1_BL1_BS1_CLR0_DTVA0_DTVB0_ETSP_EPS1_ELFLR4_EMLL0_FSSC10_FL0_GLVWA4_GLVWB8_GRCGA1_GRPM1_GRVWn1_GSU1_GSUASB_GLS0_IU1_K1_LBSPPA128_LBSPPB128_LPA4_LPB8_LRVW4_LWPMn1_MIAV0_MKFGSU256_NTA0_NTB0_NTC3_NTD3_NEPBS0_NLCA1_NLCB1_ONLL1_PGR2_PLR5_PKA0_SIA3_SLW1_SS1_SU0_SUM0_SUS0_SPO1_SRVW0_SSO6_SVW1_TSGRA0_TSGRB0_TT6_128_TLDS1_UMLDSA1_UMLDSB1_USFGROn1_VAW1_VSn1_VW1_VWB1_VFLRP0_WSGRA0_WSGRB0_WG32_8_1_WGM30.kd'
    .language:                   OpenCL C
    .language_version:
      - 2
      - 0
    .args:
      - .name:            Tensor2dSizeA
        .size:            8
        .offset:          0
        .value_kind:      by_value
        .value_type:      u64
      - .name:            Tensor2dSizeB
        .size:            8
        .offset:          8
        .value_kind:      by_value
        .value_type:      u64
      - .name:            AddressD
        .size:            8
        .offset:          16
        .value_kind:      by_value
        .value_type:      u64
      - .name:            AddressC
        .size:            8
        .offset:          24
        .value_kind:      by_value
        .value_type:      u64
      - .name:            AddressA
        .size:            8
        .offset:          32
        .value_kind:      by_value
        .value_type:      u64
      - .name:            AddressB
        .size:            8
        .offset:          40
        .value_kind:      by_value
        .value_type:      u64
      - .name:            Alpha
        .size:            4
        .offset:          48
        .value_kind:      by_value
        .value_type:      u32
      - .name:            Beta
        .size:            4
        .offset:          52
        .value_kind:      by_value
        .value_type:      u32
      - .name:            StridesD
        .size:            8
        .offset:          56
        .value_kind:      by_value
        .value_type:      u64
      - .name:            StridesC
        .size:            8
        .offset:          64
        .value_kind:      by_value
        .value_type:      u64
      - .name:            StridesA
        .size:            8
        .offset:          72
        .value_kind:      by_value
        .value_type:      u64
      - .name:            StridesB
        .size:            8
        .offset:          80
        .value_kind:      by_value
        .value_type:      u64
      - .name:            SizesFree
        .size:            12
        .offset:          88
        .value_kind:      by_value
        .value_type:      u96
      - .name:            SizesSum
        .size:            4
        .offset:          100
        .value_kind:      by_value
        .value_type:      u32
      - .name:            NumWorkGroups0
        .size:            4
        .offset:          104
        .value_kind:      by_value
        .value_type:      u32
      - .name:            NumWorkGroups1
        .size:            4
        .offset:          108
        .value_kind:      by_value
        .value_type:      u32
      - .name:            NumFullBlocks
        .size:            4
        .offset:          112
        .value_kind:      by_value
        .value_type:      u32
      - .name:            WgmRemainder1
        .size:            4
        .offset:          116
        .value_kind:      by_value
        .value_type:      u32
      - .name:            MagicNumberWgmRemainder1
        .size:            4
        .offset:          120
        .value_kind:      by_value
        .value_type:      u32
    .group_segment_fixed_size:   62976
    .kernarg_segment_align:      8
    .kernarg_segment_size:       128
    .max_flat_workgroup_size:    256
    .private_segment_fixed_size: 0
    .sgpr_count:                 76
    .sgpr_spill_count:           0
    .vgpr_count:                 256
    .vgpr_spill_count:           0
    .wavefront_size:             64
...
.end_amdgpu_metadata
Cijk_Alik_Bljk_BBS_BH_MT192x256x64_MI16x16x16x1_SN_1LDSB1_APM1_AF0EM1_AF1EM1_AMAS0_ASE_ASGT_ASLT_ASM_ASAE01_ASCE01_ASEM1_BL1_BS1_CLR0_DTVA0_DTVB0_ETSP_EPS1_ELFLR4_EMLL0_FSSC10_FL0_GLVWA4_GLVWB8_GRCGA1_GRPM1_GRVWn1_GSU1_GSUASB_GLS0_IU1_K1_LBSPPA128_LBSPPB128_LPA4_LPB8_LRVW4_LWPMn1_MIAV0_MKFGSU256_NTA0_NTB0_NTC3_NTD3_NEPBS0_NLCA1_NLCB1_ONLL1_PGR2_PLR5_PKA0_SIA3_SLW1_SS1_SU0_SUM0_SUS0_SPO1_SRVW0_SSO6_SVW1_TSGRA0_TSGRB0_TT6_128_TLDS1_UMLDSA1_UMLDSB1_USFGROn1_VAW1_VSn1_VW1_VWB1_VFLRP0_WSGRA0_WSGRB0_WG32_8_1_WGM30:

/******************************************/
/* Asm syntax workarounds                 */
/******************************************/
.macro _v_add_co_u32 dst:req, cc:req, src0:req, src1:req, dpp=
   v_add_co_u32 \dst, \cc, \src0, \src1 \dpp
.endm

.macro _v_add_u32 dst:req, src0:req, src1:req, dpp=
   v_add_u32 \dst, \src0, \src1 \dpp
.endm

.macro _v_add_i32 dst:req, src0:req, src1:req, dpp=
   v_add_i32 \dst, \src0, \src1 \dpp
.endm

.macro _v_addc_co_u32 dst:req, ccOut:req, src0:req, ccIn:req, src1:req, dpp=
   v_addc_co_u32 \dst, \ccOut, \src0, \ccIn, \src1 \dpp
.endm

.macro _v_sub_co_u32 dst:req, cc:req, src0:req, src1:req, dpp=
   v_sub_co_u32 \dst, \cc, \src0, \src1 \dpp
.endm

.macro _v_sub_u32 dst:req, src0:req, src1:req, dpp=
   v_sub_u32 \dst, \src0, \src1 \dpp
.endm

.macro _v_sub_i32 dst:req, src0:req, src1:req, dpp=
   v_sub_i32 \dst, \src0, \src1 \dpp
.endm

.macro _v_add_lshl_u32 dst:req, src0:req, src1:req, shiftCnt:req
    v_add_lshl_u32 \dst, \src0, \src1, \shiftCnt
.endm

.macro _v_lshl_add_u32 dst:req, src0:req, src1:req, shiftCnt:req
    v_lshl_add_u32 \dst, \src0, \src1, \shiftCnt
.endm

.macro _v_lshl_or_b32 dst:req, src0:req, shiftCnt:req, src1:req
    v_lshl_or_b32 \dst, \src0, \shiftCnt, \src1
.endm

.macro _v_dot2acc_f32_f16 dst, src0, src1
v_dot2c_f32_f16 \dst, \src0, \src1
.endm

.macro _v_cmpx_lt_i16 dst, src0, src1=
   v_cmpx_lt_i16 \dst, \src0, \src1 
.endm

.macro _v_cmpx_lt_i32 dst, src0, src1=
   v_cmpx_lt_i32 \dst, \src0, \src1 
.endm

.macro _v_cmpx_lt_i64 dst, src0, src1=
   v_cmpx_lt_i64 \dst, \src0, \src1 
.endm

.macro _v_cmpx_lt_u16 dst, src0, src1=
   v_cmpx_lt_u16 \dst, \src0, \src1 
.endm

.macro _v_cmpx_lt_u32 dst, src0, src1=
   v_cmpx_lt_u32 \dst, \src0, \src1 
.endm

.macro _v_cmpx_lt_u64 dst, src0, src1=
   v_cmpx_lt_u64 \dst, \src0, \src1 
.endm

.macro _v_cmpx_eq_i16 dst, src0, src1=
   v_cmpx_eq_i16 \dst, \src0, \src1 
.endm

.macro _v_cmpx_eq_i32 dst, src0, src1=
   v_cmpx_eq_i32 \dst, \src0, \src1 
.endm

.macro _v_cmpx_eq_i64 dst, src0, src1=
   v_cmpx_eq_i64 \dst, \src0, \src1 
.endm

.macro _v_cmpx_eq_u16 dst, src0, src1=
   v_cmpx_eq_u16 \dst, \src0, \src1 
.endm

.macro _v_cmpx_eq_u32 dst, src0, src1=
   v_cmpx_eq_u32 \dst, \src0, \src1 
.endm

.macro _v_cmpx_eq_u64 dst, src0, src1=
   v_cmpx_eq_u64 \dst, \src0, \src1 
.endm

.macro _v_cmpx_le_i16 dst, src0, src1=
   v_cmpx_le_i16 \dst, \src0, \src1 
.endm

.macro _v_cmpx_le_i32 dst, src0, src1=
   v_cmpx_le_i32 \dst, \src0, \src1 
.endm

.macro _v_cmpx_le_i64 dst, src0, src1=
   v_cmpx_le_i64 \dst, \src0, \src1 
.endm

.macro _v_cmpx_le_u16 dst, src0, src1=
   v_cmpx_le_u16 \dst, \src0, \src1 
.endm

.macro _v_cmpx_le_u32 dst, src0, src1=
   v_cmpx_le_u32 \dst, \src0, \src1 
.endm

.macro _v_cmpx_le_u64 dst, src0, src1=
   v_cmpx_le_u64 \dst, \src0, \src1 
.endm

.macro _v_cmpx_gt_i16 dst, src0, src1=
   v_cmpx_gt_i16 \dst, \src0, \src1 
.endm

.macro _v_cmpx_gt_i32 dst, src0, src1=
   v_cmpx_gt_i32 \dst, \src0, \src1 
.endm

.macro _v_cmpx_gt_i64 dst, src0, src1=
   v_cmpx_gt_i64 \dst, \src0, \src1 
.endm

.macro _v_cmpx_gt_u16 dst, src0, src1=
   v_cmpx_gt_u16 \dst, \src0, \src1 
.endm

.macro _v_cmpx_gt_u32 dst, src0, src1=
   v_cmpx_gt_u32 \dst, \src0, \src1 
.endm

.macro _v_cmpx_gt_u64 dst, src0, src1=
   v_cmpx_gt_u64 \dst, \src0, \src1 
.endm

.macro _v_cmpx_ne_i16 dst, src0, src1=
   v_cmpx_ne_i16 \dst, \src0, \src1 
.endm

.macro _v_cmpx_ne_i32 dst, src0, src1=
   v_cmpx_ne_i32 \dst, \src0, \src1 
.endm

.macro _v_cmpx_ne_i64 dst, src0, src1=
   v_cmpx_ne_i64 \dst, \src0, \src1 
.endm

.macro _v_cmpx_ne_u16 dst, src0, src1=
   v_cmpx_ne_u16 \dst, \src0, \src1 
.endm

.macro _v_cmpx_ne_u32 dst, src0, src1=
   v_cmpx_ne_u32 \dst, \src0, \src1 
.endm

.macro _v_cmpx_ne_u64 dst, src0, src1=
   v_cmpx_ne_u64 \dst, \src0, \src1 
.endm

.macro _v_cmpx_lg_i16 dst, src0, src1=
   v_cmpx_lg_i16 \dst, \src0, \src1 
.endm

.macro _v_cmpx_lg_i32 dst, src0, src1=
   v_cmpx_lg_i32 \dst, \src0, \src1 
.endm

.macro _v_cmpx_lg_i64 dst, src0, src1=
   v_cmpx_lg_i64 \dst, \src0, \src1 
.endm

.macro _v_cmpx_lg_u16 dst, src0, src1=
   v_cmpx_lg_u16 \dst, \src0, \src1 
.endm

.macro _v_cmpx_lg_u32 dst, src0, src1=
   v_cmpx_lg_u32 \dst, \src0, \src1 
.endm

.macro _v_cmpx_lg_u64 dst, src0, src1=
   v_cmpx_lg_u64 \dst, \src0, \src1 
.endm

.macro _v_cmpx_ge_i16 dst, src0, src1=
   v_cmpx_ge_i16 \dst, \src0, \src1 
.endm

.macro _v_cmpx_ge_i32 dst, src0, src1=
   v_cmpx_ge_i32 \dst, \src0, \src1 
.endm

.macro _v_cmpx_ge_i64 dst, src0, src1=
   v_cmpx_ge_i64 \dst, \src0, \src1 
.endm

.macro _v_cmpx_ge_u16 dst, src0, src1=
   v_cmpx_ge_u16 \dst, \src0, \src1 
.endm

.macro _v_cmpx_ge_u32 dst, src0, src1=
   v_cmpx_ge_u32 \dst, \src0, \src1 
.endm

.macro _v_cmpx_ge_u64 dst, src0, src1=
   v_cmpx_ge_u64 \dst, \src0, \src1 
.endm

.macro _v_cmpx_o_i16 dst, src0, src1=
   v_cmpx_o_i16 \dst, \src0, \src1 
.endm

.macro _v_cmpx_o_i32 dst, src0, src1=
   v_cmpx_o_i32 \dst, \src0, \src1 
.endm

.macro _v_cmpx_o_i64 dst, src0, src1=
   v_cmpx_o_i64 \dst, \src0, \src1 
.endm

.macro _v_cmpx_o_u16 dst, src0, src1=
   v_cmpx_o_u16 \dst, \src0, \src1 
.endm

.macro _v_cmpx_o_u32 dst, src0, src1=
   v_cmpx_o_u32 \dst, \src0, \src1 
.endm

.macro _v_cmpx_o_u64 dst, src0, src1=
   v_cmpx_o_u64 \dst, \src0, \src1 
.endm

.macro _v_cmpx_u_i16 dst, src0, src1=
   v_cmpx_u_i16 \dst, \src0, \src1 
.endm

.macro _v_cmpx_u_i32 dst, src0, src1=
   v_cmpx_u_i32 \dst, \src0, \src1 
.endm

.macro _v_cmpx_u_i64 dst, src0, src1=
   v_cmpx_u_i64 \dst, \src0, \src1 
.endm

.macro _v_cmpx_u_u16 dst, src0, src1=
   v_cmpx_u_u16 \dst, \src0, \src1 
.endm

.macro _v_cmpx_u_u32 dst, src0, src1=
   v_cmpx_u_u32 \dst, \src0, \src1 
.endm

.macro _v_cmpx_u_u64 dst, src0, src1=
   v_cmpx_u_u64 \dst, \src0, \src1 
.endm
.macro _v_mac_f32 c:req, a:req, b:req
    v_fmac_f32 \c, \a, \b
.endmacro

/* scale global load macros */
.macro _s_load_b32 dst base offset
    s_load_dword \dst \base \offset
.endm

.macro _s_load_b64 dst base offset
    s_load_dwordx2 \dst \base \offset
.endm

.macro _s_load_b128 dst base offset
    s_load_dwordx4 \dst \base \offset
.endm

.macro _s_load_b256 dst base offset
    s_load_dwordx8 \dst \base \offset
.endm

.macro _s_load_b512 dst base offset
    s_load_dwordx16 \dst \base \offset
.endm


/* ds operation macros */
.macro _ds_load_u8 dst src offset
    ds_read_u8 \dst \src \offset
.endm

.macro _ds_load_u8_d16_hi dst src offset
    ds_read_u8_d16_hi \dst \src \offset
.endm

.macro _ds_load_u16 dst src offset
    ds_read_u16 \dst \src \offset
.endm

.macro _ds_load_u16_d16_hi dst src offset
    ds_read_u16_d16_hi \dst \src \offset
.endm

.macro _ds_load_b32 dst src offset
    ds_read_b32 \dst \src \offset
.endm

.macro _ds_load_b64 dst src offset
    ds_read_b64 \dst \src \offset
.endm

.macro _ds_load_b128 dst src offset
    ds_read_b128 \dst \src \offset
.endm

.macro _ds_store_b8 dst src offset
    ds_write_b8 \dst \src \offset
.endm

.macro _ds_store_b8_d16_hi dst src offset
    ds_write_b8_d16_hi \dst \src \offset
.endm

.macro _ds_store_b16 dst src offset
    ds_write_b16 \dst \src \offset
.endm

.macro _ds_store_b16_d16_hi dst src offset
    ds_write_b16_d16_hi \dst \src \offset
.endm

.macro _ds_store_b32 dst src offset
    ds_write_b32 \dst \src \offset
.endm

.macro _ds_store_b64 dst src offset
    ds_write_b64 \dst \src \offset
.endm

.macro _ds_store_b128 dst src offset
    ds_write_b128 \dst \src \offset
.endm

.macro _ds_load2_b32 dst src offset1 offset2
    ds_read2_b32 \dst \src \offset1 \offset2
.endm

.macro _ds_load2_b64 dst src offset1 offset2
    ds_read2_b64 \dst \src \offset1 \offset2
.endm

.macro _ds_store2_b32 dst src offset1 offset2
    ds_write2_b32 \dst \src \offset1 \offset2
.endm

.macro _ds_store2_b64 dst src offset1 offset2
    ds_write2_b64 \dst \src \offset1 \offset2
.endm


/* buffer memory operation macros */
.macro _buffer_load_b32 dst voffset base soffset offen ioffset md0 md1 md2
    buffer_load_dword \dst \voffset \base \soffset \offen \ioffset \md0 \md1 \md2
.endm

.macro _buffer_load_b64 dst voffset base soffset offen ioffset md0 md1 md2
    buffer_load_dwordx2 \dst \voffset \base \soffset \offen \ioffset \md0 \md1 \md2
.endm

.macro _buffer_load_b96 dst voffset base soffset offen ioffset md0 md1 md2
    buffer_load_dwordx3 \dst \voffset \base \soffset \offen \ioffset \md0 \md1 \md2
.endm

.macro _buffer_load_b128 dst voffset base soffset offen ioffset md0 md1 md2
    buffer_load_dwordx4 \dst \voffset \base \soffset \offen \ioffset \md0 \md1 \md2
.endm

.macro _buffer_load_d16_b16 dst voffset base soffset offen ioffset md0 md1 md2
    buffer_load_short_d16 \dst \voffset \base \soffset \offen \ioffset \md0 \md1 \md2
.endm

.macro _buffer_load_d16_hi_b16 dst voffset base soffset offen ioffset md0 md1 md2
    buffer_load_short_d16_hi \dst \voffset \base \soffset \offen \ioffset \md0 \md1 \md2
.endm

.macro _buffer_load_d16_u8 dst voffset base soffset offen ioffset md0 md1 md2
    buffer_load_ubyte_d16 \dst \voffset \base \soffset \offen \ioffset \md0 \md1 \md2
.endm

.macro _buffer_load_d16_hi_u8 dst voffset base soffset offen ioffset md0 md1 md2
    buffer_load_ubyte_d16_hi \dst \voffset \base \soffset \offen \ioffset \md0 \md1 \md2
.endm

.macro _buffer_load_u16 dst voffset base soffset offen ioffset md0 md1 md2
    buffer_load_ushort \dst \voffset \base \soffset \offen \ioffset \md0 \md1 \md2
.endm

.macro _buffer_load_b32_dtl voffset base soffset offen ioffset md0 md1 md2
    buffer_load_dword \voffset \base \soffset \offen \ioffset \md0 \md1 \md2
.endm

.macro _buffer_load_b64_dtl voffset base soffset offen ioffset md0 md1 md2
    buffer_load_dwordx2 \voffset \base \soffset \offen \ioffset \md0 \md1 \md2
.endm

.macro _buffer_load_b128_dtl voffset base soffset offen ioffset md0 md1 md2
    buffer_load_dwordx4 \voffset \base \soffset \offen \ioffset \md0 \md1 \md2
.endm

.macro _buffer_load_u16_dtl voffset base soffset offen ioffset md0 md1 md2
    buffer_load_ushort \voffset \base \soffset \offen \ioffset \md0 \md1 \md2
.endm

.macro _buffer_store_b32 src voffset base soffset offen ioffset md0 md1 md2
    buffer_store_dword \src \voffset \base \soffset \offen \ioffset \md0 \md1 \md2
.endm

.macro _buffer_store_b64 src voffset base soffset offen ioffset md0 md1 md2
    buffer_store_dwordx2 \src \voffset \base \soffset \offen \ioffset \md0 \md1 \md2
.endm

.macro _buffer_store_b96 src voffset base soffset offen ioffset md0 md1 md2
    buffer_store_dwordx3 \src \voffset \base \soffset \offen \ioffset \md0 \md1 \md2
.endm

.macro _buffer_store_b128 src voffset base soffset offen ioffset md0 md1 md2
    buffer_store_dwordx4 \src \voffset \base \soffset \offen \ioffset \md0 \md1 \md2
.endm

.macro _buffer_store_b16 src voffset base soffset offen ioffset md0 md1 md2
    buffer_store_short \src \voffset \base \soffset \offen \ioffset \md0 \md1 \md2
.endm

.macro _buffer_store_d16_hi_b16 src voffset base soffset offen ioffset md0 md1 md2
    buffer_store_short_d16_hi \src \voffset \base \soffset \offen \ioffset \md0 \md1 \md2
.endm

.macro _buffer_store_b8 src voffset base soffset offen ioffset md0 md1 md2
    buffer_store_byte \src \voffset \base \soffset \offen \ioffset \md0 \md1 \md2
.endm

.macro _buffer_store_d16_hi_b8 src voffset base soffset offen ioffset md0 md1 md2
    buffer_store_byte_d16_hi \src \voffset \base \soffset \offen \ioffset \md0 \md1 \md2
.endm

.macro _buffer_atomic_cmpswap_b32 dst voffset base soffset offen ioffset md0 md1 md2
    buffer_atomic_cmpswap \dst \voffset \base \soffset \offen \ioffset \md0 \md1 \md2
.endm

.macro _buffer_atomic_cmpswap_b64 dst voffset base soffset offen ioffset md0 md1 md2
    buffer_atomic_cmpswap_x2 \dst \voffset \base \soffset \offen \ioffset \md0 \md1 \md2
.endm


/* buffer memory operation macros */
.macro _global_load_b32 dst base src ioffset md0 md1 md2
    global_load_dword \dst \base \src \ioffset \md0 \md1 \md2
.endm

.macro _global_load_b64 dst base src ioffset md0 md1 md2
    global_load_dwordx2 \dst \base \src \ioffset \md0 \md1 \md2
.endm

.macro _global_load_b96 dst base src ioffset md0 md1 md2
    global_load_dwordx3 \dst \base \src \ioffset \md0 \md1 \md2
.endm

.macro _global_load_b128 dst base src ioffset md0 md1 md2
    global_load_dwordx4 \dst \base \src \ioffset \md0 \md1 \md2
.endm

.macro _global_load_d16_b16 dst base src ioffset md0 md1 md2
    global_load_short_d16 \dst \base \src \ioffset \md0 \md1 \md2
.endm

.macro _global_load_d16_hi_b16 dst base src ioffset md0 md1 md2
    global_load_short_d16_hi \dst \base \src \ioffset \md0 \md1 \md2
.endm

.macro _global_load_d16_u8 dst base src ioffset md0 md1 md2
    global_load_ubyte_d16 \dst \base \src \ioffset \md0 \md1 \md2
.endm

.macro _global_load_d16_hi_u8 dst base src ioffset md0 md1 md2
    global_load_ubyte_d16_hi \dst \base \src \ioffset \md0 \md1 \md2
.endm

.macro _global_load_u16 dst base src ioffset md0 md1 md2
    global_load_ushort \dst \base \src \ioffset \md0 \md1 \md2
.endm

.macro _global_store_b32 base src src2 md0 md1 md2
    global_store_dword \base \src \src2 \md0 \md1 \md2
.endm

.macro _global_store_b64 base src src2 md0 md1 md2
    global_store_dwordx2 \base \src \src2 \md0 \md1 \md2
.endm

.macro _global_store_b96 base src src2 md0 md1 md2
    global_store_dwordx3 \base \src \src2 \md0 \md1 \md2
.endm

.macro _global_store_b128 base src src2 md0 md1 md2
    global_store_dwordx4 \base \src \src2 \md0 \md1 \md2
.endm

.macro _global_store_d16_b16 base src src2 md0 md1 md2
    global_store_short \base \src \src2 \md0 \md1 \md2
.endm

.macro _global_store_d16_hi_b16 base src src2 md0 md1 md2
    global_store_short_d16_hi \base \src \src2 \md0 \md1 \md2
.endm

.macro _global_store_d16_u8 base src src2 md0 md1 md2
    global_store_ubyte_d16 \base \src \src2 \md0 \md1 \md2
.endm

.macro _global_store_d16_hi_u8 base src src2 md0 md1 md2
    global_store_ubyte_d16_hi \base \src \src2 \md0 \md1 \md2
.endm

.macro _global_store_u16 base src src2 md0 md1 md2
    global_store_ushort \base \src \src2 \md0 \md1 \md2
.endm

.macro _global_atomic_cmpswap_b32 tmp base data src ioffset md
    global_atomic_cmpswap \tmp \base \data \src \ioffset \md
.endm

.macro _global_atomic_cmpswap_b64 tmp base data src ioffset md
    global_atomic_cmpswap_x2 \tmp \base \data \src \ioffset \md
.endm


/******************************************/
/* Magic div and mod functions            */
/******************************************/
.macro V_MAGIC_DIV dstIdx:req, dividend:req, magicNumber:req, magicShift:req, magicA:req
    v_mul_hi_u32 v[\dstIdx+1], \dividend, \magicNumber
    v_mul_lo_u32 v[\dstIdx+0], \dividend, \magicA
    _v_add_u32 v[\dstIdx+0], v[\dstIdx+0], v[\dstIdx+1]
    v_lshrrev_b32 v[\dstIdx+0], \magicShift, v[\dstIdx+0]
.endm

/******************************************/
/* VGPR Assignments                       */
/******************************************/
/* ValuC range: [0-0), serializedStore enabled */
.set vgprValuC, 0
/* ValuA/B   Xn=PLR buffer idx,  In=InnerUnroll idx */
.set vgprValuA_X0_I0, 0
.set vgprValuA_X1_I0, 12
.set vgprValuA_X2_I0, 24
.set vgprValuA_X3_I0, 36
.set vgprG2LA, 116
.set vgprValuB_X0_I0, 48
.set vgprValuB_X1_I0, 64
.set vgprValuB_X2_I0, 80
.set vgprValuB_X3_I0, 96
.set vgprG2LB, 140
.set vgprLocalWriteAddrA, 112
.set vgprLocalWriteAddrB, 113
.set vgprGlobalReadOffsetA, 114
.set vgprGlobalReadOffsetB, 115
.set vgprLocalReadAddrA, 172
.set vgprLocalReadAddrB, 173
.set vgprSerial, 174
/* Num VGPR=256 */
/* Num AccVGPR=192 */

/******************************************/
/* SGPR Assignments                       */
/******************************************/
.set sgprKernArgAddress, 0 // (2)
.set sgprWorkGroup0, 2 // (1)
.set sgprWorkGroup1, 3 // (1)
.set sgprWorkGroup2, 4 // (1)
.set sgprLoopCounterL, 5 // (1)
.set sgprOrigLoopCounter, 6 // (1)
.set sgprSrdA, 8 // (4)
.set sgprSrdB, 12 // (4)
.set sgprSrdD, 16 // (4)
.set sgprSrdC, 20 // (4)
.set sgprTensor2dSizeA, 24 // (2)
.set sgprTensor2dSizeB, 26 // (2)
.set sgprAddressD, 28 // (2)
.set sgprAddressC, 30 // (2)
.set sgprAddressA, 32 // (2)
.set sgprAddressB, 34 // (2)
.set sgprAlpha, 36 // (1)
.set sgprBeta, 37 // (1)
.set sgprStridesD, 38 // (2)
.set sgprStridesC, 40 // (2)
.set sgprStridesA, 42 // (2)
.set sgprStridesB, 44 // (2)
.set sgprSizesFree, 46 // (3)
.set sgprSizesSum, 49 // (1)
.set sgprNumWorkGroups0, 50 // (1)
.set sgprNumWorkGroups1, 51 // (1)
.set sgprNumFullBlocks, 52 // (1)
.set sgprWgmRemainder1, 53 // (1)
.set sgprMagicNumberWgmRemainder1, 54 // (1)
.set sgprShadowLimitA, 0 // (2)
.set sgprShadowLimitB, 28 // (2)
.set sgprGlobalReadIncsA, 7 // (1)
.set sgprGlobalReadIncsB, 30 // (1)
.set sgprScalarGlobalReadOffsetA, 58 // (11)
.set sgprScalarGlobalReadOffsetB, 69 // (7)
/* max SGPR=76 */

/* Size Assignments */
.set sgprSizeI, sgprSizesFree+0
.set sgprSizeJ, sgprSizesFree+1
.set sgprSizeK, sgprSizesFree+2
.set sgprSizeL, sgprSizesSum+0

/* Stride Assignments */
.set constStrideD0I, 1
.set sgprStrideD1J, sgprStridesD+0
.set sgprStrideDK, sgprStridesD+1
.set constStrideC0I, 1
.set sgprStrideC1J, sgprStridesC+0
.set sgprStrideCK, sgprStridesC+1
.set constStrideAL, 1
.set sgprStrideA0I, sgprStridesA+0
.set sgprStrideAK, sgprStridesA+1
.set constStrideBL, 1
.set sgprStrideB1J, sgprStridesB+0
.set sgprStrideBK, sgprStridesB+1

.set MT0, 192
.set MT1, 256
.set DepthU, 64
.set GSU, 1
.set BpeA, 2
.set BpeALog2, 1
.set BpeB, 2
.set BpeBLog2, 1
/* Number of elements to shift-left SRD */
.set SrdShiftLeftA, 4
.set SrdShiftLeftB, 8
/* 2GB limit - set offsets to -1 to exceed this and clamp */
.set BufferLimitA, 0xffffffff
.set BufferLimitB, 0xffffffff
.set BufferOOB, 0xfffff000

/******************************************/
/* Bits 127:96 of SRD.                    */
/* hex: 0x00020000                        */
/* dst_sel_x (3b): 0                      */
/* dst_sel_y (3b): 0                      */
/* dst_sel_z (3b): 0                      */
/* dst_sel_w (3b): 0                      */
/* num_format (3b): 0                     */
/* data_format (4b): 4                    */
/* user_vm_enable (1b): 0                 */
/* user_vm_mode (1b): 0                   */
/* index_stride (2b): 0                   */
/* add_tid_enable (1b): 0                 */
/* _unusedA (3b): 0                       */
/* nv (1b): 0                             */
/* _unusedB (2b): 0                       */
/* type (2b): 0                           */
/******************************************/
.set Srd127_96, 0x00020000

/* Global Offset A */
.macro GLOBAL_OFFSET_A vgprAddr:req vgprOffsetL:req vgprOffset0I:req vgprTmp:req
v_mul_lo_u32 v[\vgprTmp+0], s[sgprStrideA0I], v[\vgprOffset0I] // mul d1 lower
_v_add_co_u32 v[\vgprAddr+0], vcc, v[\vgprOffsetL], v[\vgprTmp+0] // accumulate K lower
_v_add_u32 v[\vgprAddr+0], 0x4, v[\vgprAddr+0]     // add prepad for pointer shift
v_lshlrev_b32 v[\vgprAddr+0], 0x1, v[\vgprAddr+0]  // offset *= bytes/element
.endm

/* Global Offset B */
.macro GLOBAL_OFFSET_B vgprAddr:req vgprOffsetL:req vgprOffset1J:req vgprTmp:req
v_mul_lo_u32 v[\vgprTmp+0], s[sgprStrideB1J], v[\vgprOffset1J] // mul d1 lower
_v_add_co_u32 v[\vgprAddr+0], vcc, v[\vgprOffsetL], v[\vgprTmp+0] // accumulate K lower
_v_add_u32 v[\vgprAddr+0], 0x8, v[\vgprAddr+0]     // add prepad for pointer shift
v_lshlrev_b32 v[\vgprAddr+0], 0x1, v[\vgprAddr+0]  // offset *= bytes/element
.endm

/******************************************/
/* Dynamic Scalar Divide: vQuotient=vDividend/vDivisor; vRemainder=vDividend%vDivisor; */
/******************************************/
.macro DYNAMIC_VECTOR_DIVIDE vQuotient vRemainder vDividend vDivisor vTmp0 vTmp1 sTmp
v_cvt_f32_u32 v[\vQuotient], v[\vDivisor]          // 
v_rcp_f32 v[\vQuotient], v[\vQuotient]             // 
v_mul_f32 v[\vQuotient], 0x4f800000, v[\vQuotient] // 
v_cvt_u32_f32 v[\vQuotient], v[\vQuotient]         // 
v_mul_lo_u32 v[\vRemainder], v[\vDivisor], v[\vQuotient] // 
v_mul_hi_u32 v[\vTmp0], v[\vDivisor], v[\vQuotient] // 
_v_sub_co_u32 v[\vTmp1], vcc, 0x0, v[\vRemainder]  // 
v_cmp_ne_i32 s[\sTmp:\sTmp+1], 0x0, v[\vTmp0]      // 
v_cndmask_b32 v[\vRemainder], v[\vTmp1], v[\vRemainder], s[\sTmp:\sTmp+1] // 
v_mul_hi_u32 v[\vRemainder], v[\vRemainder], v[\vQuotient] // 
_v_sub_co_u32 v[\vTmp0], vcc, v[\vQuotient], v[\vRemainder] // 
_v_add_co_u32 v[\vQuotient], vcc, v[\vQuotient], v[\vRemainder] // 
v_cndmask_b32 v[\vQuotient], v[\vQuotient], v[\vTmp0], s[\sTmp:\sTmp+1] // 
v_mul_hi_u32 v[\vQuotient], v[\vQuotient], v[\vDividend] // 
v_mul_lo_u32 v[\vRemainder], v[\vQuotient], v[\vDivisor] // 
_v_sub_co_u32 v[\vTmp0], vcc, v[\vDividend], v[\vRemainder] // 
v_cmp_ge_u32 s[\sTmp:\sTmp+1], v[\vDividend], v[\vRemainder] // 
_v_add_co_u32 v[\vRemainder], vcc, 0x1, v[\vQuotient] // 
_v_add_co_u32 v[\vTmp1], vcc, -1, v[\vQuotient]    // 
v_cmp_le_u32 vcc, v[\vDivisor], v[\vTmp0]          // 
s_and_b64 vcc, s[\sTmp:\sTmp+1], vcc               // 
v_cndmask_b32 v[\vQuotient], v[\vQuotient], v[\vRemainder], vcc // 
v_cndmask_b32 v[\vQuotient], v[\vTmp1], v[\vQuotient], s[\sTmp:\sTmp+1] // 
v_cmp_ne_i32 vcc, 0x0, v[\vDivisor]                // 
v_cndmask_b32 v[\vQuotient], -1, v[\vQuotient], vcc // final result
v_mul_lo_u32 v[\vRemainder], v[\vQuotient], v[\vDivisor] // 
_v_sub_co_u32 v[\vRemainder], vcc, v[\vDividend], v[\vRemainder] // final result
.endm


	;; [unrolled: 1-line block ×3, first 2 shown]
/******************************************/
/* Allocate Resources                     */
/******************************************/

Cijk_Alik_Bljk_BBS_BH_MT192x256x64_MI16x16x16x1_SN_1LDSB1_APM1_AF0EM1_AF1EM1_AMAS0_ASE_ASGT_ASLT_ASM_ASAE01_ASCE01_ASEM1_BL1_BS1_CLR0_DTVA0_DTVB0_ETSP_EPS1_ELFLR4_EMLL0_FSSC10_FL0_GLVWA4_GLVWB8_GRCGA1_GRPM1_GRVWn1_GSU1_GSUASB_GLS0_IU1_K1_LBSPPA128_LBSPPB128_LPA4_LPB8_LRVW4_LWPMn1_MIAV0_MKFGSU256_NTA0_NTB0_NTC3_NTD3_NEPBS0_NLCA1_NLCB1_ONLL1_PGR2_PLR5_PKA0_SIA3_SLW1_SS1_SU0_SUM0_SUS0_SPO1_SRVW0_SSO6_SVW1_TSGRA0_TSGRB0_TT6_128_TLDS1_UMLDSA1_UMLDSB1_USFGROn1_VAW1_VSn1_VW1_VWB1_VFLRP0_WSGRA0_WSGRB0_WG32_8_1_WGM30_preloaded: // Kernel start when preloading
s_setprio 3                                        // optimization store

/* Load Kernel Args */
_s_load_b512 s[24:39], s[sgprKernArgAddress:sgprKernArgAddress+1], 0x0 // 
_s_load_b256 s[40:47], s[sgprKernArgAddress:sgprKernArgAddress+1], 0x40 // 
_s_load_b128 s[48:51], s[sgprKernArgAddress:sgprKernArgAddress+1], 0x60 // 
_s_load_b64 s[52:53], s[sgprKernArgAddress:sgprKernArgAddress+1], 0x70 // 
_s_load_b32 s54, s[sgprKernArgAddress:sgprKernArgAddress+1], 0x78 // 
s_mov_b32 m0, 0xf600                               // LDS clamp at 62976 bytes
v_mov_b32 v[vgprSerial], v0                        // thread serial id

/******************************************/
/* Local Read Addresses                   */
/******************************************/


/* local read addresses: tile assignments a/b */

/*lr0I*/
v_and_b32 v1, 63, v[vgprSerial]                    // 0. thread id in wave: wtid = tid % wavelength(64)
v_and_b32 v0, 15, v1                               // 1. N offset: nIdx = wtid % MI_N(16)
v_lshlrev_b32 v0, 0x6, v0                          // 1. N offset: nOffset = nIdx * nStride(64)
                                                   // 2. block offset: bnIdx = bnIdx % num1DBlocks(1) is 0. do nothing
                                                   // 4. apply VectorWidth: bnOffset = bnOffset * vw(1) (multiplier is 1, do nothing)
v_lshrrev_b32 v1, 4, v1                            // 5. K offset: kIdx = wtid / (MIN(16) * MIBB(1))
v_lshlrev_b32 v1, 0x2, v1                          // 5. K offset: lrKOffset = kIdx * mStride(4)
_v_add_u32 v0, v1, v0                              // 6. offset in wave: lrOffset = bnOffset + lrKOffset
v_lshrrev_b32 v2, 6, v[vgprSerial]                 // 7. wave offset in N dimen: wtid = tid / dividedForWaveId(64)
v_and_b32 v1, 1, v2                                // 7. wave offset in M dimen: wtid0 = wtid / num1DWaves(2)
v_lshlrev_b32 v1, 0xa, v1                          // 7. wave offset in M dimen: wOffset = wtid0 * W0Stride(1024)
_v_add_u32 v0, v1, v0                              // 8. final local read offset: flrOffset = lrOffset + WOffset
/*lr1J*/
v_and_b32 v2, 63, v[vgprSerial]                    // 0. thread id in wave: wtid = tid % wavelength(64)
v_and_b32 v1, 15, v2                               // 1. N offset: nIdx = wtid % MI_N(16)
v_lshlrev_b32 v1, 0x6, v1                          // 1. N offset: nOffset = nIdx * nStride(64)
                                                   // 2. block offset: bnIdx = bnIdx % num1DBlocks(1) is 0. do nothing
                                                   // 4. apply VectorWidth: bnOffset = bnOffset * vw(1) (multiplier is 1, do nothing)
v_lshrrev_b32 v2, 4, v2                            // 5. K offset: kIdx = wtid / (MIN(16) * MIBB(1))
v_lshlrev_b32 v2, 0x2, v2                          // 5. K offset: lrKOffset = kIdx * mStride(4)
_v_add_u32 v1, v2, v1                              // 6. offset in wave: lrOffset = bnOffset + lrKOffset
v_lshrrev_b32 v3, 7, v[vgprSerial]                 // 7. wave offset in N dimen: wtid = tid / dividedForWaveId(128)
v_and_b32 v2, 1, v3                                // 7. wave offset in M dimen: wtid0 = wtid / num1DWaves(2)
v_lshlrev_b32 v2, 0xa, v2                          // 7. wave offset in M dimen: wOffset = wtid0 * W0Stride(1024)
_v_add_u32 v1, v2, v1                              // 8. final local read offset: flrOffset = lrOffset + WOffset


/* local read addresses: final offsets a */

v_lshlrev_b32 v[vgprLocalReadAddrA], 0x1, v0       // Final Offset: offset = (lro0)*bpe
v_lshrrev_b32 v0, 7, v[vgprLocalReadAddrA]         // Final Offset: padding 4 per block 128
v_lshlrev_b32 v0, 0x3, v0                          // Final Offset: padding 4 per block 128
_v_add_u32 v[vgprLocalReadAddrA], v0, v[vgprLocalReadAddrA] // Final Offset: add padding 4 per block 128


/* local read addresses: final offsets b */

v_lshlrev_b32 v[vgprLocalReadAddrB], 0x1, v1       // Final Offset: offset = (lro1)*bpe
v_lshrrev_b32 v0, 7, v[vgprLocalReadAddrB]         // Final Offset: padding 8 per block 128
v_lshlrev_b32 v0, 0x4, v0                          // Final Offset: padding 8 per block 128
_v_add_u32 v[vgprLocalReadAddrB], v0, v[vgprLocalReadAddrB] // Final Offset: add padding 8 per block 128


/* local read addresses: declare addresses a */

/* N/A */


/* local read addresses: declare addresses b */

_v_add_co_u32 v[vgprLocalReadAddrB+0], vcc, 0x6600, v[vgprLocalReadAddrB+0] //  += LdsOffsetB (lower)


/* global read addresses: tile offset assignment a */

/* LVCA = 16 */
/* v0 = (local)groA-tile = serial/LVCA (note (wgA*MTA) will be added to SRD) */
/* v1 = groA-unroll = serial%LVCA */
v_lshrrev_b32 v0, 4, v[vgprSerial]                 // v0 = v[vgprSerial] / 16
v_and_b32 v1, 15, v[vgprSerial]                    // v1 = v[vgprSerial] % 16
/* gro-unroll *= glvw */
v_lshlrev_b32 v1, 0x2, v1                          // v1 = v1 * 4


/* global read addresses: tile offset assignment b */

/* LVCB = 8 */
/* v2 = (local)groB-tile = serial/LVCB (note (wgB*MTB) will be added to SRD) */
/* v3 = groB-unroll = serial%LVCB */
v_lshrrev_b32 v2, 3, v[vgprSerial]                 // v2 = v[vgprSerial] / 8
v_and_b32 v3, 7, v[vgprSerial]                     // v3 = v[vgprSerial] % 8
/* gro-unroll *= glvw */
v_lshlrev_b32 v3, 0x3, v3                          // v3 = v3 * 8


/******************************************/
/* Local Write Addresses                  */
/******************************************/

/* lwaTileAssignmentA = v0 */

/* lwaTileAssignmentB = v2 */

/* lwaUnrollAssignmentA = v1 */

/* lwaUnrollAssignmentB = v3 */


/* local write addresses: first offset a */

v_mul_u32_u24 v[vgprLocalWriteAddrA], 0x40, v0     // lwAL**(DepthU_Compute + PAD)
_v_add_lshl_u32 v[vgprLocalWriteAddrA], v1, v[vgprLocalWriteAddrA], 0x1 // lwFOA = (lwAA + lwAL*(DepthU+PAD))*bpe
v_lshrrev_b32 v4, 7, v[vgprLocalWriteAddrA]        // padding 4 per block 128
v_lshlrev_b32 v4, 0x3, v4                          // padding 4 per block 128
_v_add_u32 v[vgprLocalWriteAddrA], v4, v[vgprLocalWriteAddrA] // add padding 4 per block 128


/* local write addresses: first offset b */

v_mul_u32_u24 v[vgprLocalWriteAddrB], 0x40, v2     // lwBL**(DepthU_Compute + PAD)
_v_add_lshl_u32 v[vgprLocalWriteAddrB], v3, v[vgprLocalWriteAddrB], 0x1 // lwFOB = (lwBB + lwBL*(DepthU+PAD))*bpe
v_lshrrev_b32 v4, 7, v[vgprLocalWriteAddrB]        // padding 8 per block 128
v_lshlrev_b32 v4, 0x4, v4                          // padding 8 per block 128
_v_add_u32 v[vgprLocalWriteAddrB], v4, v[vgprLocalWriteAddrB] // add padding 8 per block 128
_v_add_co_u32 v[vgprLocalWriteAddrB], vcc, 0x6600, v[vgprLocalWriteAddrB] // lwFOB = lwB1J + lwBL*MT1J + LDS_OFFSET_B=13056*2


	;; [unrolled: 1-line block ×7, first 2 shown]
s_waitcnt lgkmcnt(0)                               // wait for 124 bytes of kern args
s_mov_b64 s[sgprSrdC+0:sgprSrdC+0+1], s[sgprAddressC+0:sgprAddressC+0+1] // copy addressC
s_mov_b64 s[sgprSrdD+0:sgprSrdD+0+1], s[sgprAddressD+0:sgprAddressD+0+1] // copy addressD
s_sub_u32 s[sgprSrdA+0], s[sgprAddressA+0], 8      // pre-pad to make room for possible pointer shift
s_subb_u32 s[sgprSrdA+1], s[sgprAddressA+1], 0     // pre-pad to make room for possible pointer shift
s_sub_u32 s[sgprSrdB+0], s[sgprAddressB+0], 16     // pre-pad to make room for possible pointer shift
s_subb_u32 s[sgprSrdB+1], s[sgprAddressB+1], 0     // pre-pad to make room for possible pointer shift

.set AddressD, UNDEF
.set AddressC, UNDEF
.set AddressA, UNDEF
.set AddressB, UNDEF

/* Short circuit condition if Alpha == 0, then sumDims=0 */
v_cmp_eq_f32 vcc, s[sgprAlpha], 0.0                // Alpha == 0.0f ?
s_cbranch_vccz label_AlphaNonZero                  // branch if alpha != 0
s_mov_b32 s[sgprSizesSum+0], 0x0                   // Set summation dim=0 if Alpha == 0
label_AlphaNonZero:


	;; [unrolled: 1-line block ×3, first 2 shown]
/******************************************/
/* Begin setupNewTile, isPap=False           */
/******************************************/


/* global read addresses: work-group */

/* graWorkGroup mapping */
s_mov_b32 s35, 0x4444445L                          // magic number for WGM==30
s_mul_hi_u32 s33, s[sgprWorkGroup1], s35           // s_magic mul
s_mul_i32 s32, s[sgprWorkGroup1], s35              // s_magic mul
s_lshr_b64 s[32:33], s[32:33], 31                  // sMagicDiv
s_mul_i32 s33, s32, 30                             // quotient * non-magic divisor
s_sub_u32 s33, s[sgprWorkGroup1], s33              // WorkGroup1=remainder
s_mul_i32 s33, s33, s[sgprNumWorkGroups0]          // (wg1 % WGM)*nwg0
s_add_u32 s33, s33, s[sgprWorkGroup0]              // wgSerial = wg0 + (wg1 % WGM)*nwg1
s_cmp_ge_u32 s32, s[sgprNumFullBlocks]             // blockId >= numFullBlocks ?
s_cmov_b32 s35, s[sgprMagicNumberWgmRemainder1]    // 
s_cselect_b32 s34, s[sgprWgmRemainder1], 30        // 
s_mul_hi_u32 s3, s33, s35                          // s_magic mul
s_mul_i32 s2, s33, s35                             // s_magic mul
s_lshr_b64 s[2:3], s[2:3], 31                      // sMagicDiv
s_mul_i32 s[sgprWorkGroup1], s[sgprWorkGroup0], s34 // quotient * non-magic divisor
s_sub_u32 s[sgprWorkGroup1], s33, s[sgprWorkGroup1] // WorkGroup1=remainder
s_mul_i32 s32, s32, 30                             // blockId * WGM
s_add_u32 s[sgprWorkGroup1], s[sgprWorkGroup1], s32 // wg1 += blockId * WGM


/* global read addresses: unroll assignment a */

/* v1 */


/* global read addresses: unroll assignment b */

/* v3 */


/* global read addresses: other free assignments */

/* s[sgprWorkGroup2] */


/* global read addresses: tile offsets a */


	;; [unrolled: 1-line block ×3, first 2 shown]
/* global read addresses: tile offsets b */



/* global read addresses: unroll offsets a */


	;; [unrolled: 1-line block ×3, first 2 shown]
/* global read addresses: unroll offsets b */


	;; [unrolled: 1-line block ×3, first 2 shown]
/* global read addresses: final offsets a */

GLOBAL_OFFSET_A vgprGlobalReadOffsetA+0,  1,  0, 4 // gROA_0_0_0_0
s_mul_i32 s[sgprScalarGlobalReadOffsetA+0], s[sgprStrideA0I], 16 // compute offset diff (scaled tileDim)
s_lshl_b32 s[sgprScalarGlobalReadOffsetA+0], s[sgprScalarGlobalReadOffsetA+0], 0x1 // scalar offset *= bytes/element
s_mul_i32 s[sgprScalarGlobalReadOffsetA+1], s[sgprStrideA0I], 32 // compute offset diff (scaled tileDim)
s_lshl_b32 s[sgprScalarGlobalReadOffsetA+1], s[sgprScalarGlobalReadOffsetA+1], 0x1 // scalar offset *= bytes/element
	;; [unrolled: 2-line block ×11, first 2 shown]


/* global read addresses: final offsets b */

GLOBAL_OFFSET_B vgprGlobalReadOffsetB+0,  3,  2, 4 // gROB_0_0_0_0
s_mul_i32 s[sgprScalarGlobalReadOffsetB+0], s[sgprStrideB1J], 32 // compute offset diff (scaled tileDim)
s_lshl_b32 s[sgprScalarGlobalReadOffsetB+0], s[sgprScalarGlobalReadOffsetB+0], 0x1 // scalar offset *= bytes/element
s_mul_i32 s[sgprScalarGlobalReadOffsetB+1], s[sgprStrideB1J], 64 // compute offset diff (scaled tileDim)
s_lshl_b32 s[sgprScalarGlobalReadOffsetB+1], s[sgprScalarGlobalReadOffsetB+1], 0x1 // scalar offset *= bytes/element
	;; [unrolled: 2-line block ×7, first 2 shown]


/* global read addresses: addresses a */

/* max read offset = size[n] * stride[n-1] */
s_mul_hi_u32 s35, s[sgprWorkGroup0], 192           // WorkGroup[01] * MT
s_mul_i32 s34, s[sgprWorkGroup0], 192              // WorkGroup[01] * MT
s_mul_hi_u32 s35, s34, s[sgprStrideA0I]            // tlu=0, scaled tile-offset by stride
s_mul_i32 s34, s34, s[sgprStrideA0I]               // tlu=0, scaled tile-offset by stride
s_sub_u32 s[sgprShadowLimitA+0], s[sgprTensor2dSizeA], s34 // sub tileStart
s_subb_u32 s[sgprShadowLimitA+1], s[sgprTensor2dSizeA+1], s35 // sub tileStart
s_lshl_b64 s[sgprShadowLimitA:sgprShadowLimitA+1], s[sgprShadowLimitA:sgprShadowLimitA+1], 0x1 // Set limit to use bytes
s_add_u32 s[sgprShadowLimitA+0], s[sgprShadowLimitA+0], 8 // extend limit for pre-pad
s_addc_u32 s[sgprShadowLimitA+1], s[sgprShadowLimitA+1], 0 // extend limit for pre-pad
s_cmp_eq_u32 s[sgprShadowLimitA+1], 0              // are we within 2^32?
s_cselect_b32 s[sgprSrdA+2], s[sgprShadowLimitA+0], BufferLimitA // Move shadow to real if we are within 2^32
s_mul_hi_u32 s33, s[sgprStrideAK], s[sgprWorkGroup2] // Stride*WG
s_mul_i32 s32, s[sgprStrideAK], s[sgprWorkGroup2]  // Stride*WG
s_add_u32 s34, s34, s32                            // accum wg term to tilestart
s_addc_u32 s35, s35, s33                           // accum wg term to tilestart
s_lshl_b64 s[34:35], s[34:35], 0x1                 // tileStart *= BPE
s_add_u32 s[sgprSrdA+0], s[sgprSrdA+0], s34        // SRD base = Address+ tileStart0
s_addc_u32 s[sgprSrdA+1], s[sgprSrdA+1], s35       // SRD base = Address+ tileStart1
s_mov_b32 s[sgprSrdA+3], Srd127_96                 // Set bits 127_96 in SRD


/* global read addresses: addresses b */

/* max read offset = size[n] * stride[n-1] */
s_mul_hi_u32 s35, s[sgprWorkGroup1], 256           // WorkGroup[01] * MT
s_mul_i32 s34, s[sgprWorkGroup1], 256              // WorkGroup[01] * MT
s_mul_hi_u32 s35, s34, s[sgprStrideB1J]            // tlu=0, scaled tile-offset by stride
s_mul_i32 s34, s34, s[sgprStrideB1J]               // tlu=0, scaled tile-offset by stride
s_sub_u32 s[sgprShadowLimitB+0], s[sgprTensor2dSizeB], s34 // sub tileStart
s_subb_u32 s[sgprShadowLimitB+1], s[sgprTensor2dSizeB+1], s35 // sub tileStart
s_lshl_b64 s[sgprShadowLimitB:sgprShadowLimitB+1], s[sgprShadowLimitB:sgprShadowLimitB+1], 0x1 // Set limit to use bytes
s_add_u32 s[sgprShadowLimitB+0], s[sgprShadowLimitB+0], 16 // extend limit for pre-pad
s_addc_u32 s[sgprShadowLimitB+1], s[sgprShadowLimitB+1], 0 // extend limit for pre-pad
s_cmp_eq_u32 s[sgprShadowLimitB+1], 0              // are we within 2^32?
s_cselect_b32 s[sgprSrdB+2], s[sgprShadowLimitB+0], BufferLimitB // Move shadow to real if we are within 2^32
s_mul_hi_u32 s33, s[sgprStrideBK], s[sgprWorkGroup2] // Stride*WG
s_mul_i32 s32, s[sgprStrideBK], s[sgprWorkGroup2]  // Stride*WG
s_add_u32 s34, s34, s32                            // accum wg term to tilestart
s_addc_u32 s35, s35, s33                           // accum wg term to tilestart
s_lshl_b64 s[34:35], s[34:35], 0x1                 // tileStart *= BPE
s_add_u32 s[sgprSrdB+0], s[sgprSrdB+0], s34        // SRD base = Address+ tileStart0
s_addc_u32 s[sgprSrdB+1], s[sgprSrdB+1], s35       // SRD base = Address+ tileStart1
s_mov_b32 s[sgprSrdB+3], Srd127_96                 // Set bits 127_96 in SRD


/* global read addresses: increments a */

s_mov_b32 s[sgprGlobalReadIncsA+0], DepthU*BpeA    // incrA (unrollIdx)


/* global read addresses: increments b */

s_mov_b32 s[sgprGlobalReadIncsB+0], DepthU*BpeB    // incrB (unrollIdx)

/* declare loop num iterations */


s_lshr_b32 s[sgprLoopCounterL], s[sgprSizesSum+0], 6 // s[sgprLoopCounterL] = s[sgprSizesSum+0] / 64
s_mov_b32 s[sgprOrigLoopCounter], s[sgprLoopCounterL] // copy loop counter

/* local read addresses: init pointers a */


/* localReadInitPointers */

/* local read addresses: init pointers b */


/* localReadInitPointers */


/* prefetch: global -> local */

s_cmp_eq_u32 s[sgprLoopCounterL], 0                // at last iteration?
s_setprio 0                                        // optimization store
s_cbranch_scc1 ShadowInitStart_10                  // skip to ShadowInitStart iter b/c numIter==0


_buffer_load_b64 v[vgprG2LA+0:vgprG2LA+0+1], v[vgprGlobalReadOffsetA+0], s[sgprSrdA:sgprSrdA+3], 0, offen offset:0 // G -> Reg 0_0_0_0
_buffer_load_b64 v[vgprG2LA+2:vgprG2LA+2+1], v[vgprGlobalReadOffsetA+0], s[sgprSrdA:sgprSrdA+3], s[sgprScalarGlobalReadOffsetA+0], offen offset:0 // G -> Reg 0_0_1_0
_buffer_load_b64 v[vgprG2LA+4:vgprG2LA+4+1], v[vgprGlobalReadOffsetA+0], s[sgprSrdA:sgprSrdA+3], s[sgprScalarGlobalReadOffsetA+1], offen offset:0 // G -> Reg 0_0_2_0
_buffer_load_b64 v[vgprG2LA+6:vgprG2LA+6+1], v[vgprGlobalReadOffsetA+0], s[sgprSrdA:sgprSrdA+3], s[sgprScalarGlobalReadOffsetA+2], offen offset:0 // G -> Reg 0_0_3_0
_buffer_load_b64 v[vgprG2LA+8:vgprG2LA+8+1], v[vgprGlobalReadOffsetA+0], s[sgprSrdA:sgprSrdA+3], s[sgprScalarGlobalReadOffsetA+3], offen offset:0 // G -> Reg 0_0_4_0
_buffer_load_b64 v[vgprG2LA+10:vgprG2LA+10+1], v[vgprGlobalReadOffsetA+0], s[sgprSrdA:sgprSrdA+3], s[sgprScalarGlobalReadOffsetA+4], offen offset:0 // G -> Reg 0_0_5_0
_buffer_load_b64 v[vgprG2LA+12:vgprG2LA+12+1], v[vgprGlobalReadOffsetA+0], s[sgprSrdA:sgprSrdA+3], s[sgprScalarGlobalReadOffsetA+5], offen offset:0 // G -> Reg 0_0_6_0
_buffer_load_b64 v[vgprG2LA+14:vgprG2LA+14+1], v[vgprGlobalReadOffsetA+0], s[sgprSrdA:sgprSrdA+3], s[sgprScalarGlobalReadOffsetA+6], offen offset:0 // G -> Reg 0_0_7_0
_buffer_load_b64 v[vgprG2LA+16:vgprG2LA+16+1], v[vgprGlobalReadOffsetA+0], s[sgprSrdA:sgprSrdA+3], s[sgprScalarGlobalReadOffsetA+7], offen offset:0 // G -> Reg 0_0_8_0
_buffer_load_b64 v[vgprG2LA+18:vgprG2LA+18+1], v[vgprGlobalReadOffsetA+0], s[sgprSrdA:sgprSrdA+3], s[sgprScalarGlobalReadOffsetA+8], offen offset:0 // G -> Reg 0_0_9_0
_buffer_load_b64 v[vgprG2LA+20:vgprG2LA+20+1], v[vgprGlobalReadOffsetA+0], s[sgprSrdA:sgprSrdA+3], s[sgprScalarGlobalReadOffsetA+9], offen offset:0 // G -> Reg 0_0_10_0
_buffer_load_b64 v[vgprG2LA+22:vgprG2LA+22+1], v[vgprGlobalReadOffsetA+0], s[sgprSrdA:sgprSrdA+3], s[sgprScalarGlobalReadOffsetA+10], offen offset:0 // G -> Reg 0_0_11_0


_buffer_load_b128 v[vgprG2LB+0:vgprG2LB+0+3], v[vgprGlobalReadOffsetB+0], s[sgprSrdB:sgprSrdB+3], 0, offen offset:0 // G -> Reg 0_0_0_0
_buffer_load_b128 v[vgprG2LB+4:vgprG2LB+4+3], v[vgprGlobalReadOffsetB+0], s[sgprSrdB:sgprSrdB+3], s[sgprScalarGlobalReadOffsetB+0], offen offset:0 // G -> Reg 0_0_1_0
_buffer_load_b128 v[vgprG2LB+8:vgprG2LB+8+3], v[vgprGlobalReadOffsetB+0], s[sgprSrdB:sgprSrdB+3], s[sgprScalarGlobalReadOffsetB+1], offen offset:0 // G -> Reg 0_0_2_0
_buffer_load_b128 v[vgprG2LB+12:vgprG2LB+12+3], v[vgprGlobalReadOffsetB+0], s[sgprSrdB:sgprSrdB+3], s[sgprScalarGlobalReadOffsetB+2], offen offset:0 // G -> Reg 0_0_3_0
_buffer_load_b128 v[vgprG2LB+16:vgprG2LB+16+3], v[vgprGlobalReadOffsetB+0], s[sgprSrdB:sgprSrdB+3], s[sgprScalarGlobalReadOffsetB+3], offen offset:0 // G -> Reg 0_0_4_0
_buffer_load_b128 v[vgprG2LB+20:vgprG2LB+20+3], v[vgprGlobalReadOffsetB+0], s[sgprSrdB:sgprSrdB+3], s[sgprScalarGlobalReadOffsetB+4], offen offset:0 // G -> Reg 0_0_5_0
_buffer_load_b128 v[vgprG2LB+24:vgprG2LB+24+3], v[vgprGlobalReadOffsetB+0], s[sgprSrdB:sgprSrdB+3], s[sgprScalarGlobalReadOffsetB+5], offen offset:0 // G -> Reg 0_0_6_0
_buffer_load_b128 v[vgprG2LB+28:vgprG2LB+28+3], v[vgprGlobalReadOffsetB+0], s[sgprSrdB:sgprSrdB+3], s[sgprScalarGlobalReadOffsetB+6], offen offset:0 // G -> Reg 0_0_7_0


/* global read inc A loopL */
s_add_u32 s[sgprSrdA+0], s[sgprSrdA+0], s[sgprGlobalReadIncsA+0] // gra SRD += inc(lower)
s_addc_u32  s[sgprSrdA+1], s[sgprSrdA+1], 0        // gra SRD += inc(upper)
s_sub_u32 s[sgprShadowLimitA+0], s[sgprShadowLimitA+0], s[sgprGlobalReadIncsA+0] // limit -= inc)
s_subb_u32 s[sgprShadowLimitA+1], s[sgprShadowLimitA+1], 0 // limit -= inc)
s_cmp_eq_u32 s[sgprShadowLimitA+1], 0              // are we within 2^32?
s_cmov_b32 s[sgprSrdA+2], s[sgprShadowLimitA+0]    // Move shadow to real if we are within 2^32

/* global read inc B loopL */
s_add_u32 s[sgprSrdB+0], s[sgprSrdB+0], s[sgprGlobalReadIncsB+0] // gra SRD += inc(lower)
s_addc_u32  s[sgprSrdB+1], s[sgprSrdB+1], 0        // gra SRD += inc(upper)
s_sub_u32 s[sgprShadowLimitB+0], s[sgprShadowLimitB+0], s[sgprGlobalReadIncsB+0] // limit -= inc)
s_subb_u32 s[sgprShadowLimitB+1], s[sgprShadowLimitB+1], 0 // limit -= inc)
s_cmp_eq_u32 s[sgprShadowLimitB+1], 0              // are we within 2^32?
s_cmov_b32 s[sgprSrdB+2], s[sgprShadowLimitB+0]    // Move shadow to real if we are within 2^32


/******************************************/
/* End setupNewTile, isPap=False             */
/******************************************/

ShadowInitStart_10: // 

s_mov_b32 s[sgprSrdD+2], BufferOOB                 // 
s_mov_b32 s[sgprSrdD+3], Srd127_96                 // Set bits 127_96 in post-loop SRD

s_mov_b32 s[sgprSrdC+2], BufferOOB                 // 
s_mov_b32 s[sgprSrdC+3], Srd127_96                 // Set bits 127_96 in post-loop SRD


s_mul_i32 s34, MT1, s[sgprWorkGroup1]              // <- wg1*MT1
s_mul_hi_u32 s33, s34, s[sgprStrideC1J]            // CScale s34 by Stride
s_mul_i32 s32, s34, s[sgprStrideC1J]               // CScale s34 by Stride
s_lshl_b64 s[32:33], s[32:33], 1                   // scale by bpe
s_add_u32 s[sgprSrdC+0], s[sgprSrdC+0], s32        // add lo to SRD
s_addc_u32 s[sgprSrdC+1], s[sgprSrdC+1], s33       // add hi to SRD
s_mul_hi_u32 s33, s34, s[sgprStrideD1J]            // Scale s34 by Stride
s_mul_i32 s32, s34, s[sgprStrideD1J]               // Scale s34 by Stride
s_lshl_b64 s[32:33], s[32:33], 1                   // scale by bpe
s_add_u32 s[sgprSrdD+0], s[sgprSrdD+0], s32        // add lo to SRD
s_addc_u32 s[sgprSrdD+1], s[sgprSrdD+1], s33       // add hi to SRD

s_mul_hi_u32 s33, s[sgprWorkGroup2], s[sgprStrideCK] // CScale s[sgprWorkGroup2] by Stride
s_mul_i32 s32, s[sgprWorkGroup2], s[sgprStrideCK]  // CScale s[sgprWorkGroup2] by Stride
s_lshl_b64 s[32:33], s[32:33], 1                   // scale by bpe
s_add_u32 s[sgprSrdC+0], s[sgprSrdC+0], s32        // add lo to SRD
s_addc_u32 s[sgprSrdC+1], s[sgprSrdC+1], s33       // add hi to SRD
s_mul_hi_u32 s33, s[sgprWorkGroup2], s[sgprStrideDK] // Scale s[sgprWorkGroup2] by Stride
s_mul_i32 s32, s[sgprWorkGroup2], s[sgprStrideDK]  // Scale s[sgprWorkGroup2] by Stride
s_lshl_b64 s[32:33], s[32:33], 1                   // scale by bpe
s_add_u32 s[sgprSrdD+0], s[sgprSrdD+0], s32        // add lo to SRD
s_addc_u32 s[sgprSrdD+1], s[sgprSrdD+1], s33       // add hi to SRD


	;; [unrolled: 1-line block ×3, first 2 shown]
/* initC: remove C-tile 0-0 from pool */

/* initC: remove AB-tile 0-112 from pool */
v_accvgpr_write acc0, 0x0                          // initC
v_accvgpr_write acc1, 0x0                          // initC
v_accvgpr_write acc2, 0x0                          // initC
v_accvgpr_write acc3, 0x0                          // initC
v_accvgpr_write acc4, 0x0                          // initC
v_accvgpr_write acc5, 0x0                          // initC
v_accvgpr_write acc6, 0x0                          // initC
v_accvgpr_write acc7, 0x0                          // initC
v_accvgpr_write acc8, 0x0                          // initC
v_accvgpr_write acc9, 0x0                          // initC
v_accvgpr_write acc10, 0x0                         // initC
v_accvgpr_write acc11, 0x0                         // initC
v_accvgpr_write acc12, 0x0                         // initC
v_accvgpr_write acc13, 0x0                         // initC
v_accvgpr_write acc14, 0x0                         // initC
v_accvgpr_write acc15, 0x0                         // initC
v_accvgpr_write acc16, 0x0                         // initC
v_accvgpr_write acc17, 0x0                         // initC
v_accvgpr_write acc18, 0x0                         // initC
v_accvgpr_write acc19, 0x0                         // initC
v_accvgpr_write acc20, 0x0                         // initC
v_accvgpr_write acc21, 0x0                         // initC
v_accvgpr_write acc22, 0x0                         // initC
v_accvgpr_write acc23, 0x0                         // initC
v_accvgpr_write acc24, 0x0                         // initC
v_accvgpr_write acc25, 0x0                         // initC
v_accvgpr_write acc26, 0x0                         // initC
v_accvgpr_write acc27, 0x0                         // initC
v_accvgpr_write acc28, 0x0                         // initC
v_accvgpr_write acc29, 0x0                         // initC
v_accvgpr_write acc30, 0x0                         // initC
v_accvgpr_write acc31, 0x0                         // initC
v_accvgpr_write acc32, 0x0                         // initC
v_accvgpr_write acc33, 0x0                         // initC
v_accvgpr_write acc34, 0x0                         // initC
v_accvgpr_write acc35, 0x0                         // initC
v_accvgpr_write acc36, 0x0                         // initC
v_accvgpr_write acc37, 0x0                         // initC
v_accvgpr_write acc38, 0x0                         // initC
v_accvgpr_write acc39, 0x0                         // initC
v_accvgpr_write acc40, 0x0                         // initC
v_accvgpr_write acc41, 0x0                         // initC
v_accvgpr_write acc42, 0x0                         // initC
v_accvgpr_write acc43, 0x0                         // initC
v_accvgpr_write acc44, 0x0                         // initC
v_accvgpr_write acc45, 0x0                         // initC
v_accvgpr_write acc46, 0x0                         // initC
v_accvgpr_write acc47, 0x0                         // initC
v_accvgpr_write acc48, 0x0                         // initC
v_accvgpr_write acc49, 0x0                         // initC
v_accvgpr_write acc50, 0x0                         // initC
v_accvgpr_write acc51, 0x0                         // initC
v_accvgpr_write acc52, 0x0                         // initC
v_accvgpr_write acc53, 0x0                         // initC
v_accvgpr_write acc54, 0x0                         // initC
v_accvgpr_write acc55, 0x0                         // initC
v_accvgpr_write acc56, 0x0                         // initC
v_accvgpr_write acc57, 0x0                         // initC
v_accvgpr_write acc58, 0x0                         // initC
v_accvgpr_write acc59, 0x0                         // initC
v_accvgpr_write acc60, 0x0                         // initC
v_accvgpr_write acc61, 0x0                         // initC
v_accvgpr_write acc62, 0x0                         // initC
v_accvgpr_write acc63, 0x0                         // initC
v_accvgpr_write acc64, 0x0                         // initC
v_accvgpr_write acc65, 0x0                         // initC
v_accvgpr_write acc66, 0x0                         // initC
v_accvgpr_write acc67, 0x0                         // initC
v_accvgpr_write acc68, 0x0                         // initC
v_accvgpr_write acc69, 0x0                         // initC
v_accvgpr_write acc70, 0x0                         // initC
v_accvgpr_write acc71, 0x0                         // initC
v_accvgpr_write acc72, 0x0                         // initC
v_accvgpr_write acc73, 0x0                         // initC
v_accvgpr_write acc74, 0x0                         // initC
v_accvgpr_write acc75, 0x0                         // initC
v_accvgpr_write acc76, 0x0                         // initC
v_accvgpr_write acc77, 0x0                         // initC
v_accvgpr_write acc78, 0x0                         // initC
v_accvgpr_write acc79, 0x0                         // initC
v_accvgpr_write acc80, 0x0                         // initC
v_accvgpr_write acc81, 0x0                         // initC
v_accvgpr_write acc82, 0x0                         // initC
v_accvgpr_write acc83, 0x0                         // initC
v_accvgpr_write acc84, 0x0                         // initC
v_accvgpr_write acc85, 0x0                         // initC
v_accvgpr_write acc86, 0x0                         // initC
v_accvgpr_write acc87, 0x0                         // initC
v_accvgpr_write acc88, 0x0                         // initC
v_accvgpr_write acc89, 0x0                         // initC
v_accvgpr_write acc90, 0x0                         // initC
v_accvgpr_write acc91, 0x0                         // initC
v_accvgpr_write acc92, 0x0                         // initC
v_accvgpr_write acc93, 0x0                         // initC
v_accvgpr_write acc94, 0x0                         // initC
v_accvgpr_write acc95, 0x0                         // initC
v_accvgpr_write acc96, 0x0                         // initC
v_accvgpr_write acc97, 0x0                         // initC
v_accvgpr_write acc98, 0x0                         // initC
v_accvgpr_write acc99, 0x0                         // initC
v_accvgpr_write acc100, 0x0                        // initC
v_accvgpr_write acc101, 0x0                        // initC
v_accvgpr_write acc102, 0x0                        // initC
v_accvgpr_write acc103, 0x0                        // initC
v_accvgpr_write acc104, 0x0                        // initC
v_accvgpr_write acc105, 0x0                        // initC
v_accvgpr_write acc106, 0x0                        // initC
v_accvgpr_write acc107, 0x0                        // initC
v_accvgpr_write acc108, 0x0                        // initC
v_accvgpr_write acc109, 0x0                        // initC
v_accvgpr_write acc110, 0x0                        // initC
v_accvgpr_write acc111, 0x0                        // initC
v_accvgpr_write acc112, 0x0                        // initC
v_accvgpr_write acc113, 0x0                        // initC
v_accvgpr_write acc114, 0x0                        // initC
v_accvgpr_write acc115, 0x0                        // initC
v_accvgpr_write acc116, 0x0                        // initC
v_accvgpr_write acc117, 0x0                        // initC
v_accvgpr_write acc118, 0x0                        // initC
v_accvgpr_write acc119, 0x0                        // initC
v_accvgpr_write acc120, 0x0                        // initC
v_accvgpr_write acc121, 0x0                        // initC
v_accvgpr_write acc122, 0x0                        // initC
v_accvgpr_write acc123, 0x0                        // initC
v_accvgpr_write acc124, 0x0                        // initC
v_accvgpr_write acc125, 0x0                        // initC
v_accvgpr_write acc126, 0x0                        // initC
v_accvgpr_write acc127, 0x0                        // initC
v_accvgpr_write acc128, 0x0                        // initC
v_accvgpr_write acc129, 0x0                        // initC
v_accvgpr_write acc130, 0x0                        // initC
v_accvgpr_write acc131, 0x0                        // initC
v_accvgpr_write acc132, 0x0                        // initC
v_accvgpr_write acc133, 0x0                        // initC
v_accvgpr_write acc134, 0x0                        // initC
v_accvgpr_write acc135, 0x0                        // initC
v_accvgpr_write acc136, 0x0                        // initC
v_accvgpr_write acc137, 0x0                        // initC
v_accvgpr_write acc138, 0x0                        // initC
v_accvgpr_write acc139, 0x0                        // initC
v_accvgpr_write acc140, 0x0                        // initC
v_accvgpr_write acc141, 0x0                        // initC
v_accvgpr_write acc142, 0x0                        // initC
v_accvgpr_write acc143, 0x0                        // initC
v_accvgpr_write acc144, 0x0                        // initC
v_accvgpr_write acc145, 0x0                        // initC
v_accvgpr_write acc146, 0x0                        // initC
v_accvgpr_write acc147, 0x0                        // initC
v_accvgpr_write acc148, 0x0                        // initC
v_accvgpr_write acc149, 0x0                        // initC
v_accvgpr_write acc150, 0x0                        // initC
v_accvgpr_write acc151, 0x0                        // initC
v_accvgpr_write acc152, 0x0                        // initC
v_accvgpr_write acc153, 0x0                        // initC
v_accvgpr_write acc154, 0x0                        // initC
v_accvgpr_write acc155, 0x0                        // initC
v_accvgpr_write acc156, 0x0                        // initC
v_accvgpr_write acc157, 0x0                        // initC
v_accvgpr_write acc158, 0x0                        // initC
v_accvgpr_write acc159, 0x0                        // initC
v_accvgpr_write acc160, 0x0                        // initC
v_accvgpr_write acc161, 0x0                        // initC
v_accvgpr_write acc162, 0x0                        // initC
v_accvgpr_write acc163, 0x0                        // initC
v_accvgpr_write acc164, 0x0                        // initC
v_accvgpr_write acc165, 0x0                        // initC
v_accvgpr_write acc166, 0x0                        // initC
v_accvgpr_write acc167, 0x0                        // initC
v_accvgpr_write acc168, 0x0                        // initC
v_accvgpr_write acc169, 0x0                        // initC
v_accvgpr_write acc170, 0x0                        // initC
v_accvgpr_write acc171, 0x0                        // initC
v_accvgpr_write acc172, 0x0                        // initC
v_accvgpr_write acc173, 0x0                        // initC
v_accvgpr_write acc174, 0x0                        // initC
v_accvgpr_write acc175, 0x0                        // initC
v_accvgpr_write acc176, 0x0                        // initC
v_accvgpr_write acc177, 0x0                        // initC
v_accvgpr_write acc178, 0x0                        // initC
v_accvgpr_write acc179, 0x0                        // initC
v_accvgpr_write acc180, 0x0                        // initC
v_accvgpr_write acc181, 0x0                        // initC
v_accvgpr_write acc182, 0x0                        // initC
v_accvgpr_write acc183, 0x0                        // initC
v_accvgpr_write acc184, 0x0                        // initC
v_accvgpr_write acc185, 0x0                        // initC
v_accvgpr_write acc186, 0x0                        // initC
v_accvgpr_write acc187, 0x0                        // initC
v_accvgpr_write acc188, 0x0                        // initC
v_accvgpr_write acc189, 0x0                        // initC
v_accvgpr_write acc190, 0x0                        // initC
v_accvgpr_write acc191, 0x0                        // initC

s_cmp_eq_u32 s[sgprLoopCounterL], 0                // at last iteration?

/* after InitC, skip to end of prefetch last iter if numIter==0 */
s_cbranch_scc0 label_NoBranch_11                   // Only branch on scc1
s_getpc_B64 s[32:33]                               // addr of next instr
s_add_i32 s34, PrefetchGlobalLastIterEnd_5, 0x4    // target branch offset
s_add_u32 s32, s32, s34                            // add target branch offset
s_addc_u32 s33, s33, 0                             // add high and carry
s_setpc_b64 s[32:33]                               // branch to PrefetchGlobalLastIterEnd_5
label_NoBranch_11:

s_waitcnt vmcnt(0)                                 // lgkmcnt=-1 vmcnt=0 8wait for global read


/* local write a */
_ds_store_b64 v[vgprLocalWriteAddrA], v[vgprG2LA+0:vgprG2LA+0+1] offset:0 // lwoA_0_0_0_0 = (0*LSCA)*(MT0I+PAD) + (0*LSPA) = 0
_ds_store_b64 v[vgprLocalWriteAddrA], v[vgprG2LA+2:vgprG2LA+2+1] offset:2176 // lwoA_0_0_1_0 = (0*LSCA)*(MT0I+PAD) + (1*LSPA) = 2176
_ds_store_b64 v[vgprLocalWriteAddrA], v[vgprG2LA+4:vgprG2LA+4+1] offset:4352 // lwoA_0_0_2_0 = (0*LSCA)*(MT0I+PAD) + (2*LSPA) = 4352
_ds_store_b64 v[vgprLocalWriteAddrA], v[vgprG2LA+6:vgprG2LA+6+1] offset:6528 // lwoA_0_0_3_0 = (0*LSCA)*(MT0I+PAD) + (3*LSPA) = 6528
_ds_store_b64 v[vgprLocalWriteAddrA], v[vgprG2LA+8:vgprG2LA+8+1] offset:8704 // lwoA_0_0_4_0 = (0*LSCA)*(MT0I+PAD) + (4*LSPA) = 8704
_ds_store_b64 v[vgprLocalWriteAddrA], v[vgprG2LA+10:vgprG2LA+10+1] offset:10880 // lwoA_0_0_5_0 = (0*LSCA)*(MT0I+PAD) + (5*LSPA) = 10880
_ds_store_b64 v[vgprLocalWriteAddrA], v[vgprG2LA+12:vgprG2LA+12+1] offset:13056 // lwoA_0_0_6_0 = (0*LSCA)*(MT0I+PAD) + (6*LSPA) = 13056
_ds_store_b64 v[vgprLocalWriteAddrA], v[vgprG2LA+14:vgprG2LA+14+1] offset:15232 // lwoA_0_0_7_0 = (0*LSCA)*(MT0I+PAD) + (7*LSPA) = 15232
_ds_store_b64 v[vgprLocalWriteAddrA], v[vgprG2LA+16:vgprG2LA+16+1] offset:17408 // lwoA_0_0_8_0 = (0*LSCA)*(MT0I+PAD) + (8*LSPA) = 17408
_ds_store_b64 v[vgprLocalWriteAddrA], v[vgprG2LA+18:vgprG2LA+18+1] offset:19584 // lwoA_0_0_9_0 = (0*LSCA)*(MT0I+PAD) + (9*LSPA) = 19584
_ds_store_b64 v[vgprLocalWriteAddrA], v[vgprG2LA+20:vgprG2LA+20+1] offset:21760 // lwoA_0_0_10_0 = (0*LSCA)*(MT0I+PAD) + (10*LSPA) = 21760
_ds_store_b64 v[vgprLocalWriteAddrA], v[vgprG2LA+22:vgprG2LA+22+1] offset:23936 // lwoA_0_0_11_0 = (0*LSCA)*(MT0I+PAD) + (11*LSPA) = 23936

/* local write b */
_ds_store_b128 v[vgprLocalWriteAddrB], v[vgprG2LB+0:vgprG2LB+0+3] offset:0 // lwoB_0_0_0_0 = (0*LSCB)*(MT1J+PAD) + (0*LSPB) = 0
_ds_store_b128 v[vgprLocalWriteAddrB], v[vgprG2LB+4:vgprG2LB+4+3] offset:4608 // lwoB_0_0_1_0 = (0*LSCB)*(MT1J+PAD) + (1*LSPB) = 4608
_ds_store_b128 v[vgprLocalWriteAddrB], v[vgprG2LB+8:vgprG2LB+8+3] offset:9216 // lwoB_0_0_2_0 = (0*LSCB)*(MT1J+PAD) + (2*LSPB) = 9216
_ds_store_b128 v[vgprLocalWriteAddrB], v[vgprG2LB+12:vgprG2LB+12+3] offset:13824 // lwoB_0_0_3_0 = (0*LSCB)*(MT1J+PAD) + (3*LSPB) = 13824
_ds_store_b128 v[vgprLocalWriteAddrB], v[vgprG2LB+16:vgprG2LB+16+3] offset:18432 // lwoB_0_0_4_0 = (0*LSCB)*(MT1J+PAD) + (4*LSPB) = 18432
_ds_store_b128 v[vgprLocalWriteAddrB], v[vgprG2LB+20:vgprG2LB+20+3] offset:23040 // lwoB_0_0_5_0 = (0*LSCB)*(MT1J+PAD) + (5*LSPB) = 23040
_ds_store_b128 v[vgprLocalWriteAddrB], v[vgprG2LB+24:vgprG2LB+24+3] offset:27648 // lwoB_0_0_6_0 = (0*LSCB)*(MT1J+PAD) + (6*LSPB) = 27648
_ds_store_b128 v[vgprLocalWriteAddrB], v[vgprG2LB+28:vgprG2LB+28+3] offset:32256 // lwoB_0_0_7_0 = (0*LSCB)*(MT1J+PAD) + (7*LSPB) = 32256


/* local write swap a */


	;; [unrolled: 1-line block ×3, first 2 shown]
/* local write swap b */


	;; [unrolled: 1-line block ×4, first 2 shown]
s_cmp_eq_u32 s[sgprLoopCounterL] 0x1               // PGR=2 but only 1 loop
s_cbranch_scc1 label_0012                          // PGR=2 but only 1 loop


_buffer_load_b64 v[vgprG2LA+0:vgprG2LA+0+1], v[vgprGlobalReadOffsetA+0], s[sgprSrdA:sgprSrdA+3], 0, offen offset:0 // G -> Reg 0_0_0_0
_buffer_load_b64 v[vgprG2LA+2:vgprG2LA+2+1], v[vgprGlobalReadOffsetA+0], s[sgprSrdA:sgprSrdA+3], s[sgprScalarGlobalReadOffsetA+0], offen offset:0 // G -> Reg 0_0_1_0
_buffer_load_b64 v[vgprG2LA+4:vgprG2LA+4+1], v[vgprGlobalReadOffsetA+0], s[sgprSrdA:sgprSrdA+3], s[sgprScalarGlobalReadOffsetA+1], offen offset:0 // G -> Reg 0_0_2_0
_buffer_load_b64 v[vgprG2LA+6:vgprG2LA+6+1], v[vgprGlobalReadOffsetA+0], s[sgprSrdA:sgprSrdA+3], s[sgprScalarGlobalReadOffsetA+2], offen offset:0 // G -> Reg 0_0_3_0
_buffer_load_b64 v[vgprG2LA+8:vgprG2LA+8+1], v[vgprGlobalReadOffsetA+0], s[sgprSrdA:sgprSrdA+3], s[sgprScalarGlobalReadOffsetA+3], offen offset:0 // G -> Reg 0_0_4_0
_buffer_load_b64 v[vgprG2LA+10:vgprG2LA+10+1], v[vgprGlobalReadOffsetA+0], s[sgprSrdA:sgprSrdA+3], s[sgprScalarGlobalReadOffsetA+4], offen offset:0 // G -> Reg 0_0_5_0
_buffer_load_b64 v[vgprG2LA+12:vgprG2LA+12+1], v[vgprGlobalReadOffsetA+0], s[sgprSrdA:sgprSrdA+3], s[sgprScalarGlobalReadOffsetA+5], offen offset:0 // G -> Reg 0_0_6_0
_buffer_load_b64 v[vgprG2LA+14:vgprG2LA+14+1], v[vgprGlobalReadOffsetA+0], s[sgprSrdA:sgprSrdA+3], s[sgprScalarGlobalReadOffsetA+6], offen offset:0 // G -> Reg 0_0_7_0
_buffer_load_b64 v[vgprG2LA+16:vgprG2LA+16+1], v[vgprGlobalReadOffsetA+0], s[sgprSrdA:sgprSrdA+3], s[sgprScalarGlobalReadOffsetA+7], offen offset:0 // G -> Reg 0_0_8_0
_buffer_load_b64 v[vgprG2LA+18:vgprG2LA+18+1], v[vgprGlobalReadOffsetA+0], s[sgprSrdA:sgprSrdA+3], s[sgprScalarGlobalReadOffsetA+8], offen offset:0 // G -> Reg 0_0_9_0
_buffer_load_b64 v[vgprG2LA+20:vgprG2LA+20+1], v[vgprGlobalReadOffsetA+0], s[sgprSrdA:sgprSrdA+3], s[sgprScalarGlobalReadOffsetA+9], offen offset:0 // G -> Reg 0_0_10_0
_buffer_load_b64 v[vgprG2LA+22:vgprG2LA+22+1], v[vgprGlobalReadOffsetA+0], s[sgprSrdA:sgprSrdA+3], s[sgprScalarGlobalReadOffsetA+10], offen offset:0 // G -> Reg 0_0_11_0


_buffer_load_b128 v[vgprG2LB+0:vgprG2LB+0+3], v[vgprGlobalReadOffsetB+0], s[sgprSrdB:sgprSrdB+3], 0, offen offset:0 // G -> Reg 0_0_0_0
_buffer_load_b128 v[vgprG2LB+4:vgprG2LB+4+3], v[vgprGlobalReadOffsetB+0], s[sgprSrdB:sgprSrdB+3], s[sgprScalarGlobalReadOffsetB+0], offen offset:0 // G -> Reg 0_0_1_0
_buffer_load_b128 v[vgprG2LB+8:vgprG2LB+8+3], v[vgprGlobalReadOffsetB+0], s[sgprSrdB:sgprSrdB+3], s[sgprScalarGlobalReadOffsetB+1], offen offset:0 // G -> Reg 0_0_2_0
_buffer_load_b128 v[vgprG2LB+12:vgprG2LB+12+3], v[vgprGlobalReadOffsetB+0], s[sgprSrdB:sgprSrdB+3], s[sgprScalarGlobalReadOffsetB+2], offen offset:0 // G -> Reg 0_0_3_0
_buffer_load_b128 v[vgprG2LB+16:vgprG2LB+16+3], v[vgprGlobalReadOffsetB+0], s[sgprSrdB:sgprSrdB+3], s[sgprScalarGlobalReadOffsetB+3], offen offset:0 // G -> Reg 0_0_4_0
_buffer_load_b128 v[vgprG2LB+20:vgprG2LB+20+3], v[vgprGlobalReadOffsetB+0], s[sgprSrdB:sgprSrdB+3], s[sgprScalarGlobalReadOffsetB+4], offen offset:0 // G -> Reg 0_0_5_0
_buffer_load_b128 v[vgprG2LB+24:vgprG2LB+24+3], v[vgprGlobalReadOffsetB+0], s[sgprSrdB:sgprSrdB+3], s[sgprScalarGlobalReadOffsetB+5], offen offset:0 // G -> Reg 0_0_6_0
_buffer_load_b128 v[vgprG2LB+28:vgprG2LB+28+3], v[vgprGlobalReadOffsetB+0], s[sgprSrdB:sgprSrdB+3], s[sgprScalarGlobalReadOffsetB+6], offen offset:0 // G -> Reg 0_0_7_0

label_0012:                                        // 

s_waitcnt lgkmcnt(0)                               // lgkmcnt=0 vmcnt=-10prefetch wait for local write

// Skip force waitcnt0
s_barrier //


/* local read prefetch a */

_ds_load_b64 v[vgprValuA_X0_I0+0:vgprValuA_X0_I0+0+1], v[vgprLocalReadAddrA] offset:0 // L -> Reg lro=0 swapByteOffset=0 ti=32 vIdx=0 rIdx=0 oIdx=0 buffer=0 iui=0
_ds_load_b64 v[vgprValuA_X0_I0+2:vgprValuA_X0_I0+2+1], v[vgprLocalReadAddrA] offset:4352 // L -> Reg lro=0 swapByteOffset=0 ti=32 vIdx=1 rIdx=0 oIdx=0 buffer=0 iui=0
	;; [unrolled: 1-line block ×6, first 2 shown]


/* local read prefetch b */

_ds_load_b64 v[vgprValuB_X0_I0+0:vgprValuB_X0_I0+0+1], v[vgprLocalReadAddrB] offset:0 // L -> Reg lro=0 swapByteOffset=0 ti=32 vIdx=0 rIdx=0 oIdx=0 buffer=0 iui=0
_ds_load_b64 v[vgprValuB_X0_I0+2:vgprValuB_X0_I0+2+1], v[vgprLocalReadAddrB] offset:4608 // L -> Reg lro=0 swapByteOffset=0 ti=32 vIdx=1 rIdx=0 oIdx=0 buffer=0 iui=0
	;; [unrolled: 1-line block ×8, first 2 shown]


/* local read inc a */

/* N/A, lro->16 */
/* self.localReadDoCntA 1 self.localReadDoCntB 1 */


/* local read inc b */

/* N/A, lro->16 */
/* self.localReadDoCntA 1 self.localReadDoCntB 1 */


	;; [unrolled: 1-line block ×3, first 2 shown]
/******************************************/
/* Unrolled Loop(s) - Begin               */
/******************************************/

openLoopL_13:
s_cmp_eq_u32 s[sgprLoopCounterL], 0x1              // LoopCounterL < EndCounter
s_cbranch_scc1 label_0014                          // PGR=2 but only 1 loop, toPGR1
s_cmp_le_u32 s[sgprLoopCounterL], 0x2              // LoopCounterL < EndCounter
s_cbranch_scc1 LoopEndL_evenexit_4                 // do not enter LoopL
LoopBeginL_1:


/******************************************/
/* Unrolled Loop 1/2 - Begin              */
/******************************************/

label_0015: // LoopCopy1 


/* Begin Each Unroll: Check VGPR.checkin for INT8 LW */


	;; [unrolled: 1-line block ×3, first 2 shown]
/* iter 0 */

/*  grEndMfmaIndex:12, lwStartMfmaIndex:51, lwEndMfmaIndex:167  */
/*  numMfmaForLR:19, barrierMfmaIndex:172, LocalWritePerMfma:0.165 */
/*  mfmaIndex:0  */
s_waitcnt lgkmcnt(0)                               // lgkmcnt=0 vmcnt=-1wait for prior local read local write old=0, new=0 newLW=0 newLR=0
v_mfma_f32_16x16x16_bf16 a[0+0:3+0], v[vgprValuB_X0_I0+0+0+0:vgprValuB_X0_I0+0+0+0+1], v[vgprValuA_X0_I0+0+0+0:vgprValuA_X0_I0+0+0+0+1], a[0:3]
/*  mfmaIndex:1  */
_ds_load_b64 v[vgprValuA_X1_I0+0:vgprValuA_X1_I0+0+1], v[vgprLocalReadAddrA] offset:32 // L -> Reg lro=16 swapByteOffset=0 ti=32 vIdx=0 rIdx=0 oIdx=0 buffer=1 iui=0

/* global read inc A loopL */
s_add_u32 s[sgprSrdA+0], s[sgprSrdA+0], s[sgprGlobalReadIncsA+0] // gra SRD += inc(lower)
v_mfma_f32_16x16x16_bf16 a[4+0:7+0], v[vgprValuB_X0_I0+0+0+0:vgprValuB_X0_I0+0+0+0+1], v[vgprValuA_X0_I0+2+0+0:vgprValuA_X0_I0+2+0+0+1], a[4:7]
/*  mfmaIndex:2  */
_ds_load_b64 v[vgprValuB_X1_I0+0:vgprValuB_X1_I0+0+1], v[vgprLocalReadAddrB] offset:32 // L -> Reg lro=16 swapByteOffset=0 ti=32 vIdx=0 rIdx=0 oIdx=0 buffer=1 iui=0
s_addc_u32  s[sgprSrdA+1], s[sgprSrdA+1], 0        // gra SRD += inc(upper)
v_mfma_f32_16x16x16_bf16 a[8+0:11+0], v[vgprValuB_X0_I0+0+0+0:vgprValuB_X0_I0+0+0+0+1], v[vgprValuA_X0_I0+4+0+0:vgprValuA_X0_I0+4+0+0+1], a[8:11]
/*  mfmaIndex:3  */
_ds_load_b64 v[vgprValuA_X1_I0+2:vgprValuA_X1_I0+2+1], v[vgprLocalReadAddrA] offset:4384 // L -> Reg lro=16 swapByteOffset=0 ti=32 vIdx=1 rIdx=0 oIdx=0 buffer=1 iui=0
s_sub_u32 s[sgprShadowLimitA+0], s[sgprShadowLimitA+0], s[sgprGlobalReadIncsA+0] // limit -= inc)
v_mfma_f32_16x16x16_bf16 a[12+0:15+0], v[vgprValuB_X0_I0+0+0+0:vgprValuB_X0_I0+0+0+0+1], v[vgprValuA_X0_I0+6+0+0:vgprValuA_X0_I0+6+0+0+1], a[12:15]
/*  mfmaIndex:4  */
_ds_load_b64 v[vgprValuA_X1_I0+4:vgprValuA_X1_I0+4+1], v[vgprLocalReadAddrA] offset:8736 // L -> Reg lro=16 swapByteOffset=0 ti=32 vIdx=2 rIdx=0 oIdx=0 buffer=1 iui=0
s_subb_u32 s[sgprShadowLimitA+1], s[sgprShadowLimitA+1], 0 // limit -= inc)
v_mfma_f32_16x16x16_bf16 a[16+0:19+0], v[vgprValuB_X0_I0+0+0+0:vgprValuB_X0_I0+0+0+0+1], v[vgprValuA_X0_I0+8+0+0:vgprValuA_X0_I0+8+0+0+1], a[16:19]
/*  mfmaIndex:5  */
_ds_load_b64 v[vgprValuA_X1_I0+6:vgprValuA_X1_I0+6+1], v[vgprLocalReadAddrA] offset:13088 // L -> Reg lro=16 swapByteOffset=0 ti=32 vIdx=3 rIdx=0 oIdx=0 buffer=1 iui=0
s_cmp_eq_u32 s[sgprShadowLimitA+1], 0              // are we within 2^32?
v_mfma_f32_16x16x16_bf16 a[20+0:23+0], v[vgprValuB_X0_I0+0+0+0:vgprValuB_X0_I0+0+0+0+1], v[vgprValuA_X0_I0+10+0+0:vgprValuA_X0_I0+10+0+0+1], a[20:23]
/*  mfmaIndex:6  */
_ds_load_b64 v[vgprValuA_X1_I0+8:vgprValuA_X1_I0+8+1], v[vgprLocalReadAddrA] offset:17440 // L -> Reg lro=16 swapByteOffset=0 ti=32 vIdx=4 rIdx=0 oIdx=0 buffer=1 iui=0
s_cmov_b32 s[sgprSrdA+2], s[sgprShadowLimitA+0]    // Move shadow to real if we are within 2^32
v_mfma_f32_16x16x16_bf16 a[44+0:47+0], v[vgprValuB_X0_I0+2+0+0:vgprValuB_X0_I0+2+0+0+1], v[vgprValuA_X0_I0+10+0+0:vgprValuA_X0_I0+10+0+0+1], a[44:47]
/*  mfmaIndex:7  */
_ds_load_b64 v[vgprValuA_X1_I0+10:vgprValuA_X1_I0+10+1], v[vgprLocalReadAddrA] offset:21792 // L -> Reg lro=16 swapByteOffset=0 ti=32 vIdx=5 rIdx=0 oIdx=0 buffer=1 iui=0

/* global read inc B loopL */
s_add_u32 s[sgprSrdB+0], s[sgprSrdB+0], s[sgprGlobalReadIncsB+0] // gra SRD += inc(lower)
v_mfma_f32_16x16x16_bf16 a[40+0:43+0], v[vgprValuB_X0_I0+2+0+0:vgprValuB_X0_I0+2+0+0+1], v[vgprValuA_X0_I0+8+0+0:vgprValuA_X0_I0+8+0+0+1], a[40:43]
/*  mfmaIndex:8  */
_ds_load_b64 v[vgprValuB_X1_I0+2:vgprValuB_X1_I0+2+1], v[vgprLocalReadAddrB] offset:4640 // L -> Reg lro=16 swapByteOffset=0 ti=32 vIdx=1 rIdx=0 oIdx=0 buffer=1 iui=0
s_addc_u32  s[sgprSrdB+1], s[sgprSrdB+1], 0        // gra SRD += inc(upper)
v_mfma_f32_16x16x16_bf16 a[36+0:39+0], v[vgprValuB_X0_I0+2+0+0:vgprValuB_X0_I0+2+0+0+1], v[vgprValuA_X0_I0+6+0+0:vgprValuA_X0_I0+6+0+0+1], a[36:39]
/*  mfmaIndex:9  */
_ds_load_b64 v[vgprValuB_X1_I0+4:vgprValuB_X1_I0+4+1], v[vgprLocalReadAddrB] offset:9248 // L -> Reg lro=16 swapByteOffset=0 ti=32 vIdx=2 rIdx=0 oIdx=0 buffer=1 iui=0
s_sub_u32 s[sgprShadowLimitB+0], s[sgprShadowLimitB+0], s[sgprGlobalReadIncsB+0] // limit -= inc)
v_mfma_f32_16x16x16_bf16 a[32+0:35+0], v[vgprValuB_X0_I0+2+0+0:vgprValuB_X0_I0+2+0+0+1], v[vgprValuA_X0_I0+4+0+0:vgprValuA_X0_I0+4+0+0+1], a[32:35]
/*  mfmaIndex:10  */
_ds_load_b64 v[vgprValuB_X1_I0+6:vgprValuB_X1_I0+6+1], v[vgprLocalReadAddrB] offset:13856 // L -> Reg lro=16 swapByteOffset=0 ti=32 vIdx=3 rIdx=0 oIdx=0 buffer=1 iui=0
s_subb_u32 s[sgprShadowLimitB+1], s[sgprShadowLimitB+1], 0 // limit -= inc)
v_mfma_f32_16x16x16_bf16 a[28+0:31+0], v[vgprValuB_X0_I0+2+0+0:vgprValuB_X0_I0+2+0+0+1], v[vgprValuA_X0_I0+2+0+0:vgprValuA_X0_I0+2+0+0+1], a[28:31]
/*  mfmaIndex:11  */
_ds_load_b64 v[vgprValuB_X1_I0+8:vgprValuB_X1_I0+8+1], v[vgprLocalReadAddrB] offset:18464 // L -> Reg lro=16 swapByteOffset=0 ti=32 vIdx=4 rIdx=0 oIdx=0 buffer=1 iui=0
s_cmp_eq_u32 s[sgprShadowLimitB+1], 0              // are we within 2^32?
v_mfma_f32_16x16x16_bf16 a[24+0:27+0], v[vgprValuB_X0_I0+2+0+0:vgprValuB_X0_I0+2+0+0+1], v[vgprValuA_X0_I0+0+0+0:vgprValuA_X0_I0+0+0+0+1], a[24:27]
/*  mfmaIndex:12  */
_ds_load_b64 v[vgprValuB_X1_I0+10:vgprValuB_X1_I0+10+1], v[vgprLocalReadAddrB] offset:23072 // L -> Reg lro=16 swapByteOffset=0 ti=32 vIdx=5 rIdx=0 oIdx=0 buffer=1 iui=0
s_cmov_b32 s[sgprSrdB+2], s[sgprShadowLimitB+0]    // Move shadow to real if we are within 2^32
v_mfma_f32_16x16x16_bf16 a[48+0:51+0], v[vgprValuB_X0_I0+4+0+0:vgprValuB_X0_I0+4+0+0+1], v[vgprValuA_X0_I0+0+0+0:vgprValuA_X0_I0+0+0+0+1], a[48:51]
/*  mfmaIndex:13  */
_ds_load_b64 v[vgprValuB_X1_I0+12:vgprValuB_X1_I0+12+1], v[vgprLocalReadAddrB] offset:27680 // L -> Reg lro=16 swapByteOffset=0 ti=32 vIdx=6 rIdx=0 oIdx=0 buffer=1 iui=0
v_mfma_f32_16x16x16_bf16 a[52+0:55+0], v[vgprValuB_X0_I0+4+0+0:vgprValuB_X0_I0+4+0+0+1], v[vgprValuA_X0_I0+2+0+0:vgprValuA_X0_I0+2+0+0+1], a[52:55]
/*  mfmaIndex:14  */
_ds_load_b64 v[vgprValuB_X1_I0+14:vgprValuB_X1_I0+14+1], v[vgprLocalReadAddrB] offset:32288 // L -> Reg lro=16 swapByteOffset=0 ti=32 vIdx=7 rIdx=0 oIdx=0 buffer=1 iui=0
v_mfma_f32_16x16x16_bf16 a[56+0:59+0], v[vgprValuB_X0_I0+4+0+0:vgprValuB_X0_I0+4+0+0+1], v[vgprValuA_X0_I0+4+0+0:vgprValuA_X0_I0+4+0+0+1], a[56:59]
/*  mfmaIndex:15  */
/* localReadsVacancy: latencyLeft 2 */
_ds_load_b64 v[vgprValuA_X2_I0+0:vgprValuA_X2_I0+0+1], v[vgprLocalReadAddrA] offset:64 // L -> Reg lro=32 swapByteOffset=0 ti=32 vIdx=0 rIdx=0 oIdx=0 buffer=2 iui=0
v_mfma_f32_16x16x16_bf16 a[60+0:63+0], v[vgprValuB_X0_I0+4+0+0:vgprValuB_X0_I0+4+0+0+1], v[vgprValuA_X0_I0+6+0+0:vgprValuA_X0_I0+6+0+0+1], a[60:63]
/*  mfmaIndex:16  */
/* localReadsVacancy: latencyLeft 2 */
_ds_load_b64 v[vgprValuB_X2_I0+0:vgprValuB_X2_I0+0+1], v[vgprLocalReadAddrB] offset:64 // L -> Reg lro=32 swapByteOffset=0 ti=32 vIdx=0 rIdx=0 oIdx=0 buffer=2 iui=0
v_mfma_f32_16x16x16_bf16 a[64+0:67+0], v[vgprValuB_X0_I0+4+0+0:vgprValuB_X0_I0+4+0+0+1], v[vgprValuA_X0_I0+8+0+0:vgprValuA_X0_I0+8+0+0+1], a[64:67]
/*  mfmaIndex:17  */
/* localReadsVacancy: latencyLeft 2 */
_ds_load_b64 v[vgprValuA_X2_I0+2:vgprValuA_X2_I0+2+1], v[vgprLocalReadAddrA] offset:4416 // L -> Reg lro=32 swapByteOffset=0 ti=32 vIdx=1 rIdx=0 oIdx=0 buffer=2 iui=0
v_mfma_f32_16x16x16_bf16 a[68+0:71+0], v[vgprValuB_X0_I0+4+0+0:vgprValuB_X0_I0+4+0+0+1], v[vgprValuA_X0_I0+10+0+0:vgprValuA_X0_I0+10+0+0+1], a[68:71]
/*  mfmaIndex:18  */
/* localReadsVacancy: latencyLeft 2 */
_ds_load_b64 v[vgprValuA_X2_I0+4:vgprValuA_X2_I0+4+1], v[vgprLocalReadAddrA] offset:8768 // L -> Reg lro=32 swapByteOffset=0 ti=32 vIdx=2 rIdx=0 oIdx=0 buffer=2 iui=0
	;; [unrolled: 4-line block ×5, first 2 shown]
v_mfma_f32_16x16x16_bf16 a[80+0:83+0], v[vgprValuB_X0_I0+6+0+0:vgprValuB_X0_I0+6+0+0+1], v[vgprValuA_X0_I0+4+0+0:vgprValuA_X0_I0+4+0+0+1], a[80:83]
/*  mfmaIndex:22  */
/* localReadsVacancy: latencyLeft 2 */
_ds_load_b64 v[vgprValuB_X2_I0+2:vgprValuB_X2_I0+2+1], v[vgprLocalReadAddrB] offset:4672 // L -> Reg lro=32 swapByteOffset=0 ti=32 vIdx=1 rIdx=0 oIdx=0 buffer=2 iui=0
v_mfma_f32_16x16x16_bf16 a[76+0:79+0], v[vgprValuB_X0_I0+6+0+0:vgprValuB_X0_I0+6+0+0+1], v[vgprValuA_X0_I0+2+0+0:vgprValuA_X0_I0+2+0+0+1], a[76:79]
/*  mfmaIndex:23  */
/* localReadsVacancy: latencyLeft 2 */
_ds_load_b64 v[vgprValuB_X2_I0+4:vgprValuB_X2_I0+4+1], v[vgprLocalReadAddrB] offset:9280 // L -> Reg lro=32 swapByteOffset=0 ti=32 vIdx=2 rIdx=0 oIdx=0 buffer=2 iui=0
	;; [unrolled: 4-line block ×7, first 2 shown]
v_mfma_f32_16x16x16_bf16 a[112+0:115+0], v[vgprValuB_X0_I0+8+0+0:vgprValuB_X0_I0+8+0+0+1], v[vgprValuA_X0_I0+8+0+0:vgprValuA_X0_I0+8+0+0+1], a[112:115]
/*  mfmaIndex:29  */
/* localReadsVacancy: latencyLeft 2 */
_ds_load_b64 v[vgprValuA_X3_I0+0:vgprValuA_X3_I0+0+1], v[vgprLocalReadAddrA] offset:96 // L -> Reg lro=48 swapByteOffset=0 ti=32 vIdx=0 rIdx=0 oIdx=0 buffer=3 iui=0
v_mfma_f32_16x16x16_bf16 a[116+0:119+0], v[vgprValuB_X0_I0+8+0+0:vgprValuB_X0_I0+8+0+0+1], v[vgprValuA_X0_I0+10+0+0:vgprValuA_X0_I0+10+0+0+1], a[116:119]
/*  mfmaIndex:30  */
/* localReadsVacancy: latencyLeft 2 */
_ds_load_b64 v[vgprValuB_X3_I0+0:vgprValuB_X3_I0+0+1], v[vgprLocalReadAddrB] offset:96 // L -> Reg lro=48 swapByteOffset=0 ti=32 vIdx=0 rIdx=0 oIdx=0 buffer=3 iui=0
v_mfma_f32_16x16x16_bf16 a[140+0:143+0], v[vgprValuB_X0_I0+10+0+0:vgprValuB_X0_I0+10+0+0+1], v[vgprValuA_X0_I0+10+0+0:vgprValuA_X0_I0+10+0+0+1], a[140:143]
/*  mfmaIndex:31  */
/* localReadsVacancy: latencyLeft 2 */
_ds_load_b64 v[vgprValuA_X3_I0+2:vgprValuA_X3_I0+2+1], v[vgprLocalReadAddrA] offset:4448 // L -> Reg lro=48 swapByteOffset=0 ti=32 vIdx=1 rIdx=0 oIdx=0 buffer=3 iui=0
v_mfma_f32_16x16x16_bf16 a[136+0:139+0], v[vgprValuB_X0_I0+10+0+0:vgprValuB_X0_I0+10+0+0+1], v[vgprValuA_X0_I0+8+0+0:vgprValuA_X0_I0+8+0+0+1], a[136:139]
/*  mfmaIndex:32  */
/* localReadsVacancy: latencyLeft 2 */
_ds_load_b64 v[vgprValuA_X3_I0+4:vgprValuA_X3_I0+4+1], v[vgprLocalReadAddrA] offset:8800 // L -> Reg lro=48 swapByteOffset=0 ti=32 vIdx=2 rIdx=0 oIdx=0 buffer=3 iui=0
	;; [unrolled: 4-line block ×5, first 2 shown]
v_mfma_f32_16x16x16_bf16 a[120+0:123+0], v[vgprValuB_X0_I0+10+0+0:vgprValuB_X0_I0+10+0+0+1], v[vgprValuA_X0_I0+0+0+0:vgprValuA_X0_I0+0+0+0+1], a[120:123]
/*  mfmaIndex:36  */
/* localReadsVacancy: latencyLeft 2 */
_ds_load_b64 v[vgprValuB_X3_I0+2:vgprValuB_X3_I0+2+1], v[vgprLocalReadAddrB] offset:4704 // L -> Reg lro=48 swapByteOffset=0 ti=32 vIdx=1 rIdx=0 oIdx=0 buffer=3 iui=0
v_mfma_f32_16x16x16_bf16 a[144+0:147+0], v[vgprValuB_X0_I0+12+0+0:vgprValuB_X0_I0+12+0+0+1], v[vgprValuA_X0_I0+0+0+0:vgprValuA_X0_I0+0+0+0+1], a[144:147]
/*  mfmaIndex:37  */
/* localReadsVacancy: latencyLeft 2 */
_ds_load_b64 v[vgprValuB_X3_I0+4:vgprValuB_X3_I0+4+1], v[vgprLocalReadAddrB] offset:9312 // L -> Reg lro=48 swapByteOffset=0 ti=32 vIdx=2 rIdx=0 oIdx=0 buffer=3 iui=0
	;; [unrolled: 4-line block ×7, first 2 shown]
v_mfma_f32_16x16x16_bf16 a[188+0:191+0], v[vgprValuB_X0_I0+14+0+0:vgprValuB_X0_I0+14+0+0+1], v[vgprValuA_X0_I0+10+0+0:vgprValuA_X0_I0+10+0+0+1], a[188:191]
/*  mfmaIndex:43  */
/* localReadsVacancy: latencyLeft 2 */
v_mfma_f32_16x16x16_bf16 a[184+0:187+0], v[vgprValuB_X0_I0+14+0+0:vgprValuB_X0_I0+14+0+0+1], v[vgprValuA_X0_I0+8+0+0:vgprValuA_X0_I0+8+0+0+1], a[184:187]
/*  mfmaIndex:44  */
/* localReadsVacancy: latencyLeft 2 */
	;; [unrolled: 3-line block ×5, first 2 shown]
v_mfma_f32_16x16x16_bf16 a[168+0:171+0], v[vgprValuB_X0_I0+14+0+0:vgprValuB_X0_I0+14+0+0+1], v[vgprValuA_X0_I0+0+0+0:vgprValuA_X0_I0+0+0+0+1], a[168:171]
/* numPrefetchIter=0 */
/* dataAtIterA=-1 numReadsIterA=1 skipReadsIterA=1 readsPerIterA=6 */
/* dataAtIterB=-1 numReadsIterB=1 skipReadsIterB=1 readsPerIterB=8 */


/* iter 1 */

/*  grEndMfmaIndex:12, lwStartMfmaIndex:51, lwEndMfmaIndex:167  */
/*  numMfmaForLR:19, barrierMfmaIndex:172, LocalWritePerMfma:0.165 */
/*  mfmaIndex:48  */
/* localReadsVacancy: latencyLeft 2 */
s_waitcnt lgkmcnt(15)                              // lgkmcnt=0 vmcnt=-1wait for prior local read local write old=14, new=14 newLW=0 newLR=0
v_mfma_f32_16x16x16_bf16 a[0+0:3+0], v[vgprValuB_X1_I0+0+0+0:vgprValuB_X1_I0+0+0+0+1], v[vgprValuA_X1_I0+0+0+0:vgprValuA_X1_I0+0+0+0+1], a[0:3]
/*  mfmaIndex:49  */
/* localReadsVacancy: latencyLeft 2 */
v_mfma_f32_16x16x16_bf16 a[4+0:7+0], v[vgprValuB_X1_I0+0+0+0:vgprValuB_X1_I0+0+0+0+1], v[vgprValuA_X1_I0+2+0+0:vgprValuA_X1_I0+2+0+0+1], a[4:7]
/*  mfmaIndex:50  */
/* localReadsVacancy: latencyLeft 2 */
/* 1 LDS buffer: read-sync-write */
s_waitcnt lgkmcnt(0)                               // 
s_barrier                                          // 
v_mfma_f32_16x16x16_bf16 a[8+0:11+0], v[vgprValuB_X1_I0+0+0+0:vgprValuB_X1_I0+0+0+0+1], v[vgprValuA_X1_I0+4+0+0:vgprValuA_X1_I0+4+0+0+1], a[8:11]
/*  mfmaIndex:51  */
s_setprio 3                                        // store optimization
/* sched write - iter 1 writesPerItem=1 */
s_waitcnt vmcnt(0)                                 // lgkmcnt=-1 vmcnt=0wait for global read before writing to local
_ds_store_b64 v[vgprLocalWriteAddrA], v[vgprG2LA+0:vgprG2LA+0+1] offset:0 // lwoA_0_0_0_0 = (0*LSCA)*(MT0I+PAD) + (0*LSPA) = 0
v_mfma_f32_16x16x16_bf16 a[12+0:15+0], v[vgprValuB_X1_I0+0+0+0:vgprValuB_X1_I0+0+0+0+1], v[vgprValuA_X1_I0+6+0+0:vgprValuA_X1_I0+6+0+0+1], a[12:15]
/*  mfmaIndex:52  */
_buffer_load_b64 v[vgprG2LA+0:vgprG2LA+0+1], v[vgprGlobalReadOffsetA+0], s[sgprSrdA:sgprSrdA+3], 0, offen offset:0 // G -> Reg 0_0_0_0
v_mfma_f32_16x16x16_bf16 a[16+0:19+0], v[vgprValuB_X1_I0+0+0+0:vgprValuB_X1_I0+0+0+0+1], v[vgprValuA_X1_I0+8+0+0:vgprValuA_X1_I0+8+0+0+1], a[16:19]
/*  mfmaIndex:53  */
v_mfma_f32_16x16x16_bf16 a[20+0:23+0], v[vgprValuB_X1_I0+0+0+0:vgprValuB_X1_I0+0+0+0+1], v[vgprValuA_X1_I0+10+0+0:vgprValuA_X1_I0+10+0+0+1], a[20:23]
/*  mfmaIndex:54  */
	;; [unrolled: 2-line block ×5, first 2 shown]
/* sched write - iter 1 writesPerItem=1 */
s_waitcnt vmcnt(0)                                 // lgkmcnt=-1 vmcnt=0wait for global read before writing to local
_ds_store_b64 v[vgprLocalWriteAddrA], v[vgprG2LA+2:vgprG2LA+2+1] offset:2176 // lwoA_0_0_1_0 = (0*LSCA)*(MT0I+PAD) + (1*LSPA) = 2176
v_mfma_f32_16x16x16_bf16 a[32+0:35+0], v[vgprValuB_X1_I0+2+0+0:vgprValuB_X1_I0+2+0+0+1], v[vgprValuA_X1_I0+4+0+0:vgprValuA_X1_I0+4+0+0+1], a[32:35]
/*  mfmaIndex:58  */
_buffer_load_b64 v[vgprG2LA+2:vgprG2LA+2+1], v[vgprGlobalReadOffsetA+0], s[sgprSrdA:sgprSrdA+3], s[sgprScalarGlobalReadOffsetA+0], offen offset:0 // G -> Reg 0_0_1_0
v_mfma_f32_16x16x16_bf16 a[28+0:31+0], v[vgprValuB_X1_I0+2+0+0:vgprValuB_X1_I0+2+0+0+1], v[vgprValuA_X1_I0+2+0+0:vgprValuA_X1_I0+2+0+0+1], a[28:31]
/*  mfmaIndex:59  */
v_mfma_f32_16x16x16_bf16 a[24+0:27+0], v[vgprValuB_X1_I0+2+0+0:vgprValuB_X1_I0+2+0+0+1], v[vgprValuA_X1_I0+0+0+0:vgprValuA_X1_I0+0+0+0+1], a[24:27]
/*  mfmaIndex:60  */
	;; [unrolled: 2-line block ×5, first 2 shown]
/* sched write - iter 1 writesPerItem=1 */
s_waitcnt vmcnt(0)                                 // lgkmcnt=-1 vmcnt=0wait for global read before writing to local
_ds_store_b64 v[vgprLocalWriteAddrA], v[vgprG2LA+4:vgprG2LA+4+1] offset:4352 // lwoA_0_0_2_0 = (0*LSCA)*(MT0I+PAD) + (2*LSPA) = 4352
v_mfma_f32_16x16x16_bf16 a[60+0:63+0], v[vgprValuB_X1_I0+4+0+0:vgprValuB_X1_I0+4+0+0+1], v[vgprValuA_X1_I0+6+0+0:vgprValuA_X1_I0+6+0+0+1], a[60:63]
/*  mfmaIndex:64  */
_buffer_load_b64 v[vgprG2LA+4:vgprG2LA+4+1], v[vgprGlobalReadOffsetA+0], s[sgprSrdA:sgprSrdA+3], s[sgprScalarGlobalReadOffsetA+1], offen offset:0 // G -> Reg 0_0_2_0
v_mfma_f32_16x16x16_bf16 a[64+0:67+0], v[vgprValuB_X1_I0+4+0+0:vgprValuB_X1_I0+4+0+0+1], v[vgprValuA_X1_I0+8+0+0:vgprValuA_X1_I0+8+0+0+1], a[64:67]
/*  mfmaIndex:65  */
v_mfma_f32_16x16x16_bf16 a[68+0:71+0], v[vgprValuB_X1_I0+4+0+0:vgprValuB_X1_I0+4+0+0+1], v[vgprValuA_X1_I0+10+0+0:vgprValuA_X1_I0+10+0+0+1], a[68:71]
/*  mfmaIndex:66  */
	;; [unrolled: 2-line block ×5, first 2 shown]
/* sched write - iter 1 writesPerItem=1 */
s_waitcnt vmcnt(0)                                 // lgkmcnt=-1 vmcnt=0wait for global read before writing to local
_ds_store_b64 v[vgprLocalWriteAddrA], v[vgprG2LA+6:vgprG2LA+6+1] offset:6528 // lwoA_0_0_3_0 = (0*LSCA)*(MT0I+PAD) + (3*LSPA) = 6528
v_mfma_f32_16x16x16_bf16 a[80+0:83+0], v[vgprValuB_X1_I0+6+0+0:vgprValuB_X1_I0+6+0+0+1], v[vgprValuA_X1_I0+4+0+0:vgprValuA_X1_I0+4+0+0+1], a[80:83]
/*  mfmaIndex:70  */
_buffer_load_b64 v[vgprG2LA+6:vgprG2LA+6+1], v[vgprGlobalReadOffsetA+0], s[sgprSrdA:sgprSrdA+3], s[sgprScalarGlobalReadOffsetA+2], offen offset:0 // G -> Reg 0_0_3_0
v_mfma_f32_16x16x16_bf16 a[76+0:79+0], v[vgprValuB_X1_I0+6+0+0:vgprValuB_X1_I0+6+0+0+1], v[vgprValuA_X1_I0+2+0+0:vgprValuA_X1_I0+2+0+0+1], a[76:79]
/*  mfmaIndex:71  */
v_mfma_f32_16x16x16_bf16 a[72+0:75+0], v[vgprValuB_X1_I0+6+0+0:vgprValuB_X1_I0+6+0+0+1], v[vgprValuA_X1_I0+0+0+0:vgprValuA_X1_I0+0+0+0+1], a[72:75]
/*  mfmaIndex:72  */
	;; [unrolled: 2-line block ×5, first 2 shown]
/* sched write - iter 1 writesPerItem=1 */
s_waitcnt vmcnt(0)                                 // lgkmcnt=-1 vmcnt=0wait for global read before writing to local
_ds_store_b64 v[vgprLocalWriteAddrA], v[vgprG2LA+8:vgprG2LA+8+1] offset:8704 // lwoA_0_0_4_0 = (0*LSCA)*(MT0I+PAD) + (4*LSPA) = 8704
v_mfma_f32_16x16x16_bf16 a[108+0:111+0], v[vgprValuB_X1_I0+8+0+0:vgprValuB_X1_I0+8+0+0+1], v[vgprValuA_X1_I0+6+0+0:vgprValuA_X1_I0+6+0+0+1], a[108:111]
/*  mfmaIndex:76  */
_buffer_load_b64 v[vgprG2LA+8:vgprG2LA+8+1], v[vgprGlobalReadOffsetA+0], s[sgprSrdA:sgprSrdA+3], s[sgprScalarGlobalReadOffsetA+3], offen offset:0 // G -> Reg 0_0_4_0
v_mfma_f32_16x16x16_bf16 a[112+0:115+0], v[vgprValuB_X1_I0+8+0+0:vgprValuB_X1_I0+8+0+0+1], v[vgprValuA_X1_I0+8+0+0:vgprValuA_X1_I0+8+0+0+1], a[112:115]
/*  mfmaIndex:77  */
v_mfma_f32_16x16x16_bf16 a[116+0:119+0], v[vgprValuB_X1_I0+8+0+0:vgprValuB_X1_I0+8+0+0+1], v[vgprValuA_X1_I0+10+0+0:vgprValuA_X1_I0+10+0+0+1], a[116:119]
/*  mfmaIndex:78  */
	;; [unrolled: 2-line block ×5, first 2 shown]
/* sched write - iter 1 writesPerItem=1 */
s_waitcnt vmcnt(0)                                 // lgkmcnt=-1 vmcnt=0wait for global read before writing to local
_ds_store_b64 v[vgprLocalWriteAddrA], v[vgprG2LA+10:vgprG2LA+10+1] offset:10880 // lwoA_0_0_5_0 = (0*LSCA)*(MT0I+PAD) + (5*LSPA) = 10880
v_mfma_f32_16x16x16_bf16 a[128+0:131+0], v[vgprValuB_X1_I0+10+0+0:vgprValuB_X1_I0+10+0+0+1], v[vgprValuA_X1_I0+4+0+0:vgprValuA_X1_I0+4+0+0+1], a[128:131]
/*  mfmaIndex:82  */
_buffer_load_b64 v[vgprG2LA+10:vgprG2LA+10+1], v[vgprGlobalReadOffsetA+0], s[sgprSrdA:sgprSrdA+3], s[sgprScalarGlobalReadOffsetA+4], offen offset:0 // G -> Reg 0_0_5_0
v_mfma_f32_16x16x16_bf16 a[124+0:127+0], v[vgprValuB_X1_I0+10+0+0:vgprValuB_X1_I0+10+0+0+1], v[vgprValuA_X1_I0+2+0+0:vgprValuA_X1_I0+2+0+0+1], a[124:127]
/*  mfmaIndex:83  */
v_mfma_f32_16x16x16_bf16 a[120+0:123+0], v[vgprValuB_X1_I0+10+0+0:vgprValuB_X1_I0+10+0+0+1], v[vgprValuA_X1_I0+0+0+0:vgprValuA_X1_I0+0+0+0+1], a[120:123]
/*  mfmaIndex:84  */
	;; [unrolled: 2-line block ×5, first 2 shown]
/* sched write - iter 1 writesPerItem=1 */
s_waitcnt vmcnt(0)                                 // lgkmcnt=-1 vmcnt=0wait for global read before writing to local
_ds_store_b64 v[vgprLocalWriteAddrA], v[vgprG2LA+12:vgprG2LA+12+1] offset:13056 // lwoA_0_0_6_0 = (0*LSCA)*(MT0I+PAD) + (6*LSPA) = 13056
v_mfma_f32_16x16x16_bf16 a[156+0:159+0], v[vgprValuB_X1_I0+12+0+0:vgprValuB_X1_I0+12+0+0+1], v[vgprValuA_X1_I0+6+0+0:vgprValuA_X1_I0+6+0+0+1], a[156:159]
/*  mfmaIndex:88  */
_buffer_load_b64 v[vgprG2LA+12:vgprG2LA+12+1], v[vgprGlobalReadOffsetA+0], s[sgprSrdA:sgprSrdA+3], s[sgprScalarGlobalReadOffsetA+5], offen offset:0 // G -> Reg 0_0_6_0
v_mfma_f32_16x16x16_bf16 a[160+0:163+0], v[vgprValuB_X1_I0+12+0+0:vgprValuB_X1_I0+12+0+0+1], v[vgprValuA_X1_I0+8+0+0:vgprValuA_X1_I0+8+0+0+1], a[160:163]
/*  mfmaIndex:89  */
v_mfma_f32_16x16x16_bf16 a[164+0:167+0], v[vgprValuB_X1_I0+12+0+0:vgprValuB_X1_I0+12+0+0+1], v[vgprValuA_X1_I0+10+0+0:vgprValuA_X1_I0+10+0+0+1], a[164:167]
/*  mfmaIndex:90  */
	;; [unrolled: 2-line block ×5, first 2 shown]
/* sched write - iter 1 writesPerItem=1 */
s_waitcnt vmcnt(0)                                 // lgkmcnt=-1 vmcnt=0wait for global read before writing to local
_ds_store_b64 v[vgprLocalWriteAddrA], v[vgprG2LA+14:vgprG2LA+14+1] offset:15232 // lwoA_0_0_7_0 = (0*LSCA)*(MT0I+PAD) + (7*LSPA) = 15232
v_mfma_f32_16x16x16_bf16 a[176+0:179+0], v[vgprValuB_X1_I0+14+0+0:vgprValuB_X1_I0+14+0+0+1], v[vgprValuA_X1_I0+4+0+0:vgprValuA_X1_I0+4+0+0+1], a[176:179]
/*  mfmaIndex:94  */
_buffer_load_b64 v[vgprG2LA+14:vgprG2LA+14+1], v[vgprGlobalReadOffsetA+0], s[sgprSrdA:sgprSrdA+3], s[sgprScalarGlobalReadOffsetA+6], offen offset:0 // G -> Reg 0_0_7_0
v_mfma_f32_16x16x16_bf16 a[172+0:175+0], v[vgprValuB_X1_I0+14+0+0:vgprValuB_X1_I0+14+0+0+1], v[vgprValuA_X1_I0+2+0+0:vgprValuA_X1_I0+2+0+0+1], a[172:175]
/*  mfmaIndex:95  */
v_mfma_f32_16x16x16_bf16 a[168+0:171+0], v[vgprValuB_X1_I0+14+0+0:vgprValuB_X1_I0+14+0+0+1], v[vgprValuA_X1_I0+0+0+0:vgprValuA_X1_I0+0+0+0+1], a[168:171]
/* numPrefetchIter=0 */
/* dataAtIterA=0 numReadsIterA=2 skipReadsIterA=1 readsPerIterA=6 */
/* dataAtIterB=0 numReadsIterB=2 skipReadsIterB=1 readsPerIterB=8 */


/* iter 2 (reset local read pointers iteration)  (swap local read pointers iteration)  */

/*  grEndMfmaIndex:12, lwStartMfmaIndex:51, lwEndMfmaIndex:167  */
/*  numMfmaForLR:19, barrierMfmaIndex:172, LocalWritePerMfma:0.165 */
/*  mfmaIndex:96  */
v_mfma_f32_16x16x16_bf16 a[0+0:3+0], v[vgprValuB_X2_I0+0+0+0:vgprValuB_X2_I0+0+0+0+1], v[vgprValuA_X2_I0+0+0+0:vgprValuA_X2_I0+0+0+0+1], a[0:3]
/*  mfmaIndex:97  */
v_mfma_f32_16x16x16_bf16 a[4+0:7+0], v[vgprValuB_X2_I0+0+0+0:vgprValuB_X2_I0+0+0+0+1], v[vgprValuA_X2_I0+2+0+0:vgprValuA_X2_I0+2+0+0+1], a[4:7]
	;; [unrolled: 2-line block ×3, first 2 shown]
/*  mfmaIndex:99  */
/* sched write - iter 2 writesPerItem=1 */
s_waitcnt vmcnt(0)                                 // lgkmcnt=-1 vmcnt=0wait for global read before writing to local
_ds_store_b64 v[vgprLocalWriteAddrA], v[vgprG2LA+16:vgprG2LA+16+1] offset:17408 // lwoA_0_0_8_0 = (0*LSCA)*(MT0I+PAD) + (8*LSPA) = 17408
v_mfma_f32_16x16x16_bf16 a[12+0:15+0], v[vgprValuB_X2_I0+0+0+0:vgprValuB_X2_I0+0+0+0+1], v[vgprValuA_X2_I0+6+0+0:vgprValuA_X2_I0+6+0+0+1], a[12:15]
/*  mfmaIndex:100  */
_buffer_load_b64 v[vgprG2LA+16:vgprG2LA+16+1], v[vgprGlobalReadOffsetA+0], s[sgprSrdA:sgprSrdA+3], s[sgprScalarGlobalReadOffsetA+7], offen offset:0 // G -> Reg 0_0_8_0
v_mfma_f32_16x16x16_bf16 a[16+0:19+0], v[vgprValuB_X2_I0+0+0+0:vgprValuB_X2_I0+0+0+0+1], v[vgprValuA_X2_I0+8+0+0:vgprValuA_X2_I0+8+0+0+1], a[16:19]
/*  mfmaIndex:101  */
v_mfma_f32_16x16x16_bf16 a[20+0:23+0], v[vgprValuB_X2_I0+0+0+0:vgprValuB_X2_I0+0+0+0+1], v[vgprValuA_X2_I0+10+0+0:vgprValuA_X2_I0+10+0+0+1], a[20:23]
/*  mfmaIndex:102  */
	;; [unrolled: 2-line block ×5, first 2 shown]
/* sched write - iter 2 writesPerItem=1 */
s_waitcnt vmcnt(0)                                 // lgkmcnt=-1 vmcnt=0wait for global read before writing to local
_ds_store_b64 v[vgprLocalWriteAddrA], v[vgprG2LA+18:vgprG2LA+18+1] offset:19584 // lwoA_0_0_9_0 = (0*LSCA)*(MT0I+PAD) + (9*LSPA) = 19584
v_mfma_f32_16x16x16_bf16 a[32+0:35+0], v[vgprValuB_X2_I0+2+0+0:vgprValuB_X2_I0+2+0+0+1], v[vgprValuA_X2_I0+4+0+0:vgprValuA_X2_I0+4+0+0+1], a[32:35]
/*  mfmaIndex:106  */
_buffer_load_b64 v[vgprG2LA+18:vgprG2LA+18+1], v[vgprGlobalReadOffsetA+0], s[sgprSrdA:sgprSrdA+3], s[sgprScalarGlobalReadOffsetA+8], offen offset:0 // G -> Reg 0_0_9_0
v_mfma_f32_16x16x16_bf16 a[28+0:31+0], v[vgprValuB_X2_I0+2+0+0:vgprValuB_X2_I0+2+0+0+1], v[vgprValuA_X2_I0+2+0+0:vgprValuA_X2_I0+2+0+0+1], a[28:31]
/*  mfmaIndex:107  */
v_mfma_f32_16x16x16_bf16 a[24+0:27+0], v[vgprValuB_X2_I0+2+0+0:vgprValuB_X2_I0+2+0+0+1], v[vgprValuA_X2_I0+0+0+0:vgprValuA_X2_I0+0+0+0+1], a[24:27]
/*  mfmaIndex:108  */
	;; [unrolled: 2-line block ×5, first 2 shown]
/* sched write - iter 2 writesPerItem=1 */
s_waitcnt vmcnt(0)                                 // lgkmcnt=-1 vmcnt=0wait for global read before writing to local
_ds_store_b64 v[vgprLocalWriteAddrA], v[vgprG2LA+20:vgprG2LA+20+1] offset:21760 // lwoA_0_0_10_0 = (0*LSCA)*(MT0I+PAD) + (10*LSPA) = 21760
v_mfma_f32_16x16x16_bf16 a[60+0:63+0], v[vgprValuB_X2_I0+4+0+0:vgprValuB_X2_I0+4+0+0+1], v[vgprValuA_X2_I0+6+0+0:vgprValuA_X2_I0+6+0+0+1], a[60:63]
/*  mfmaIndex:112  */
_buffer_load_b64 v[vgprG2LA+20:vgprG2LA+20+1], v[vgprGlobalReadOffsetA+0], s[sgprSrdA:sgprSrdA+3], s[sgprScalarGlobalReadOffsetA+9], offen offset:0 // G -> Reg 0_0_10_0
v_mfma_f32_16x16x16_bf16 a[64+0:67+0], v[vgprValuB_X2_I0+4+0+0:vgprValuB_X2_I0+4+0+0+1], v[vgprValuA_X2_I0+8+0+0:vgprValuA_X2_I0+8+0+0+1], a[64:67]
/*  mfmaIndex:113  */
v_mfma_f32_16x16x16_bf16 a[68+0:71+0], v[vgprValuB_X2_I0+4+0+0:vgprValuB_X2_I0+4+0+0+1], v[vgprValuA_X2_I0+10+0+0:vgprValuA_X2_I0+10+0+0+1], a[68:71]
/*  mfmaIndex:114  */
v_mfma_f32_16x16x16_bf16 a[92+0:95+0], v[vgprValuB_X2_I0+6+0+0:vgprValuB_X2_I0+6+0+0+1], v[vgprValuA_X2_I0+10+0+0:vgprValuA_X2_I0+10+0+0+1], a[92:95]
/*  mfmaIndex:115  */
v_mfma_f32_16x16x16_bf16 a[88+0:91+0], v[vgprValuB_X2_I0+6+0+0:vgprValuB_X2_I0+6+0+0+1], v[vgprValuA_X2_I0+8+0+0:vgprValuA_X2_I0+8+0+0+1], a[88:91]
/*  mfmaIndex:116  */
v_mfma_f32_16x16x16_bf16 a[84+0:87+0], v[vgprValuB_X2_I0+6+0+0:vgprValuB_X2_I0+6+0+0+1], v[vgprValuA_X2_I0+6+0+0:vgprValuA_X2_I0+6+0+0+1], a[84:87]
/*  mfmaIndex:117  */
/* sched write - iter 2 writesPerItem=1 */
s_waitcnt vmcnt(0)                                 // lgkmcnt=-1 vmcnt=0wait for global read before writing to local
_ds_store_b64 v[vgprLocalWriteAddrA], v[vgprG2LA+22:vgprG2LA+22+1] offset:23936 // lwoA_0_0_11_0 = (0*LSCA)*(MT0I+PAD) + (11*LSPA) = 23936
v_mfma_f32_16x16x16_bf16 a[80+0:83+0], v[vgprValuB_X2_I0+6+0+0:vgprValuB_X2_I0+6+0+0+1], v[vgprValuA_X2_I0+4+0+0:vgprValuA_X2_I0+4+0+0+1], a[80:83]
/*  mfmaIndex:118  */
_buffer_load_b64 v[vgprG2LA+22:vgprG2LA+22+1], v[vgprGlobalReadOffsetA+0], s[sgprSrdA:sgprSrdA+3], s[sgprScalarGlobalReadOffsetA+10], offen offset:0 // G -> Reg 0_0_11_0
v_mfma_f32_16x16x16_bf16 a[76+0:79+0], v[vgprValuB_X2_I0+6+0+0:vgprValuB_X2_I0+6+0+0+1], v[vgprValuA_X2_I0+2+0+0:vgprValuA_X2_I0+2+0+0+1], a[76:79]
/*  mfmaIndex:119  */
v_mfma_f32_16x16x16_bf16 a[72+0:75+0], v[vgprValuB_X2_I0+6+0+0:vgprValuB_X2_I0+6+0+0+1], v[vgprValuA_X2_I0+0+0+0:vgprValuA_X2_I0+0+0+0+1], a[72:75]
/*  mfmaIndex:120  */
	;; [unrolled: 2-line block ×5, first 2 shown]
/* sched write - iter 2 writesPerItem=1 */
s_waitcnt vmcnt(0)                                 // lgkmcnt=-1 vmcnt=0wait for global read before writing to local
_ds_store_b128 v[vgprLocalWriteAddrB], v[vgprG2LB+0:vgprG2LB+0+3] offset:0 // lwoB_0_0_0_0 = (0*LSCB)*(MT1J+PAD) + (0*LSPB) = 0
v_mfma_f32_16x16x16_bf16 a[108+0:111+0], v[vgprValuB_X2_I0+8+0+0:vgprValuB_X2_I0+8+0+0+1], v[vgprValuA_X2_I0+6+0+0:vgprValuA_X2_I0+6+0+0+1], a[108:111]
/*  mfmaIndex:124  */
_buffer_load_b128 v[vgprG2LB+0:vgprG2LB+0+3], v[vgprGlobalReadOffsetB+0], s[sgprSrdB:sgprSrdB+3], 0, offen offset:0 // G -> Reg 0_0_0_0
v_mfma_f32_16x16x16_bf16 a[112+0:115+0], v[vgprValuB_X2_I0+8+0+0:vgprValuB_X2_I0+8+0+0+1], v[vgprValuA_X2_I0+8+0+0:vgprValuA_X2_I0+8+0+0+1], a[112:115]
/*  mfmaIndex:125  */
v_mfma_f32_16x16x16_bf16 a[116+0:119+0], v[vgprValuB_X2_I0+8+0+0:vgprValuB_X2_I0+8+0+0+1], v[vgprValuA_X2_I0+10+0+0:vgprValuA_X2_I0+10+0+0+1], a[116:119]
/*  mfmaIndex:126  */
	;; [unrolled: 2-line block ×5, first 2 shown]
/* sched write - iter 2 writesPerItem=1 */
s_waitcnt vmcnt(0)                                 // lgkmcnt=-1 vmcnt=0wait for global read before writing to local
_ds_store_b128 v[vgprLocalWriteAddrB], v[vgprG2LB+4:vgprG2LB+4+3] offset:4608 // lwoB_0_0_1_0 = (0*LSCB)*(MT1J+PAD) + (1*LSPB) = 4608
v_mfma_f32_16x16x16_bf16 a[128+0:131+0], v[vgprValuB_X2_I0+10+0+0:vgprValuB_X2_I0+10+0+0+1], v[vgprValuA_X2_I0+4+0+0:vgprValuA_X2_I0+4+0+0+1], a[128:131]
/*  mfmaIndex:130  */
_buffer_load_b128 v[vgprG2LB+4:vgprG2LB+4+3], v[vgprGlobalReadOffsetB+0], s[sgprSrdB:sgprSrdB+3], s[sgprScalarGlobalReadOffsetB+0], offen offset:0 // G -> Reg 0_0_1_0
v_mfma_f32_16x16x16_bf16 a[124+0:127+0], v[vgprValuB_X2_I0+10+0+0:vgprValuB_X2_I0+10+0+0+1], v[vgprValuA_X2_I0+2+0+0:vgprValuA_X2_I0+2+0+0+1], a[124:127]
/*  mfmaIndex:131  */
v_mfma_f32_16x16x16_bf16 a[120+0:123+0], v[vgprValuB_X2_I0+10+0+0:vgprValuB_X2_I0+10+0+0+1], v[vgprValuA_X2_I0+0+0+0:vgprValuA_X2_I0+0+0+0+1], a[120:123]
/*  mfmaIndex:132  */
	;; [unrolled: 2-line block ×5, first 2 shown]
/* sched write - iter 2 writesPerItem=1 */
s_waitcnt vmcnt(0)                                 // lgkmcnt=-1 vmcnt=0wait for global read before writing to local
_ds_store_b128 v[vgprLocalWriteAddrB], v[vgprG2LB+8:vgprG2LB+8+3] offset:9216 // lwoB_0_0_2_0 = (0*LSCB)*(MT1J+PAD) + (2*LSPB) = 9216
v_mfma_f32_16x16x16_bf16 a[156+0:159+0], v[vgprValuB_X2_I0+12+0+0:vgprValuB_X2_I0+12+0+0+1], v[vgprValuA_X2_I0+6+0+0:vgprValuA_X2_I0+6+0+0+1], a[156:159]
/*  mfmaIndex:136  */
_buffer_load_b128 v[vgprG2LB+8:vgprG2LB+8+3], v[vgprGlobalReadOffsetB+0], s[sgprSrdB:sgprSrdB+3], s[sgprScalarGlobalReadOffsetB+1], offen offset:0 // G -> Reg 0_0_2_0
v_mfma_f32_16x16x16_bf16 a[160+0:163+0], v[vgprValuB_X2_I0+12+0+0:vgprValuB_X2_I0+12+0+0+1], v[vgprValuA_X2_I0+8+0+0:vgprValuA_X2_I0+8+0+0+1], a[160:163]
/*  mfmaIndex:137  */
v_mfma_f32_16x16x16_bf16 a[164+0:167+0], v[vgprValuB_X2_I0+12+0+0:vgprValuB_X2_I0+12+0+0+1], v[vgprValuA_X2_I0+10+0+0:vgprValuA_X2_I0+10+0+0+1], a[164:167]
/*  mfmaIndex:138  */
	;; [unrolled: 2-line block ×5, first 2 shown]
/* sched write - iter 2 writesPerItem=1 */
s_waitcnt vmcnt(0)                                 // lgkmcnt=-1 vmcnt=0wait for global read before writing to local
_ds_store_b128 v[vgprLocalWriteAddrB], v[vgprG2LB+12:vgprG2LB+12+3] offset:13824 // lwoB_0_0_3_0 = (0*LSCB)*(MT1J+PAD) + (3*LSPB) = 13824
v_mfma_f32_16x16x16_bf16 a[176+0:179+0], v[vgprValuB_X2_I0+14+0+0:vgprValuB_X2_I0+14+0+0+1], v[vgprValuA_X2_I0+4+0+0:vgprValuA_X2_I0+4+0+0+1], a[176:179]
/*  mfmaIndex:142  */
_buffer_load_b128 v[vgprG2LB+12:vgprG2LB+12+3], v[vgprGlobalReadOffsetB+0], s[sgprSrdB:sgprSrdB+3], s[sgprScalarGlobalReadOffsetB+2], offen offset:0 // G -> Reg 0_0_3_0
v_mfma_f32_16x16x16_bf16 a[172+0:175+0], v[vgprValuB_X2_I0+14+0+0:vgprValuB_X2_I0+14+0+0+1], v[vgprValuA_X2_I0+2+0+0:vgprValuA_X2_I0+2+0+0+1], a[172:175]
/*  mfmaIndex:143  */

/* local read swap offsets a */

/* local read swap offsets b */

/* local read init pointers a */

/* localReadInitPointers */

/* local read init pointers b */

/* localReadInitPointers */
v_mfma_f32_16x16x16_bf16 a[168+0:171+0], v[vgprValuB_X2_I0+14+0+0:vgprValuB_X2_I0+14+0+0+1], v[vgprValuA_X2_I0+0+0+0:vgprValuA_X2_I0+0+0+0+1], a[168:171]


/* iter 3 (swap and reset local write pointers iteration)  */

/*  grEndMfmaIndex:12, lwStartMfmaIndex:51, lwEndMfmaIndex:167  */
/*  numMfmaForLR:19, barrierMfmaIndex:172, LocalWritePerMfma:0.165 */
/*  mfmaIndex:144  */
v_mfma_f32_16x16x16_bf16 a[0+0:3+0], v[vgprValuB_X3_I0+0+0+0:vgprValuB_X3_I0+0+0+0+1], v[vgprValuA_X3_I0+0+0+0:vgprValuA_X3_I0+0+0+0+1], a[0:3]
/*  mfmaIndex:145  */
v_mfma_f32_16x16x16_bf16 a[4+0:7+0], v[vgprValuB_X3_I0+0+0+0:vgprValuB_X3_I0+0+0+0+1], v[vgprValuA_X3_I0+2+0+0:vgprValuA_X3_I0+2+0+0+1], a[4:7]
	;; [unrolled: 2-line block ×3, first 2 shown]
/*  mfmaIndex:147  */
/* sched write - iter 3 writesPerItem=1 */
s_waitcnt vmcnt(0)                                 // lgkmcnt=-1 vmcnt=0wait for global read before writing to local
_ds_store_b128 v[vgprLocalWriteAddrB], v[vgprG2LB+16:vgprG2LB+16+3] offset:18432 // lwoB_0_0_4_0 = (0*LSCB)*(MT1J+PAD) + (4*LSPB) = 18432
v_mfma_f32_16x16x16_bf16 a[12+0:15+0], v[vgprValuB_X3_I0+0+0+0:vgprValuB_X3_I0+0+0+0+1], v[vgprValuA_X3_I0+6+0+0:vgprValuA_X3_I0+6+0+0+1], a[12:15]
/*  mfmaIndex:148  */
_buffer_load_b128 v[vgprG2LB+16:vgprG2LB+16+3], v[vgprGlobalReadOffsetB+0], s[sgprSrdB:sgprSrdB+3], s[sgprScalarGlobalReadOffsetB+3], offen offset:0 // G -> Reg 0_0_4_0
v_mfma_f32_16x16x16_bf16 a[16+0:19+0], v[vgprValuB_X3_I0+0+0+0:vgprValuB_X3_I0+0+0+0+1], v[vgprValuA_X3_I0+8+0+0:vgprValuA_X3_I0+8+0+0+1], a[16:19]
/*  mfmaIndex:149  */
v_mfma_f32_16x16x16_bf16 a[20+0:23+0], v[vgprValuB_X3_I0+0+0+0:vgprValuB_X3_I0+0+0+0+1], v[vgprValuA_X3_I0+10+0+0:vgprValuA_X3_I0+10+0+0+1], a[20:23]
/*  mfmaIndex:150  */
	;; [unrolled: 2-line block ×6, first 2 shown]
/* sched write - iter 3 writesPerItem=1 */
s_waitcnt vmcnt(0)                                 // lgkmcnt=-1 vmcnt=0wait for global read before writing to local
_ds_store_b128 v[vgprLocalWriteAddrB], v[vgprG2LB+20:vgprG2LB+20+3] offset:23040 // lwoB_0_0_5_0 = (0*LSCB)*(MT1J+PAD) + (5*LSPB) = 23040
v_mfma_f32_16x16x16_bf16 a[28+0:31+0], v[vgprValuB_X3_I0+2+0+0:vgprValuB_X3_I0+2+0+0+1], v[vgprValuA_X3_I0+2+0+0:vgprValuA_X3_I0+2+0+0+1], a[28:31]
/*  mfmaIndex:155  */
_buffer_load_b128 v[vgprG2LB+20:vgprG2LB+20+3], v[vgprGlobalReadOffsetB+0], s[sgprSrdB:sgprSrdB+3], s[sgprScalarGlobalReadOffsetB+4], offen offset:0 // G -> Reg 0_0_5_0
v_mfma_f32_16x16x16_bf16 a[24+0:27+0], v[vgprValuB_X3_I0+2+0+0:vgprValuB_X3_I0+2+0+0+1], v[vgprValuA_X3_I0+0+0+0:vgprValuA_X3_I0+0+0+0+1], a[24:27]
/*  mfmaIndex:156  */
v_mfma_f32_16x16x16_bf16 a[48+0:51+0], v[vgprValuB_X3_I0+4+0+0:vgprValuB_X3_I0+4+0+0+1], v[vgprValuA_X3_I0+0+0+0:vgprValuA_X3_I0+0+0+0+1], a[48:51]
/*  mfmaIndex:157  */
	;; [unrolled: 2-line block ×5, first 2 shown]
/* sched write - iter 3 writesPerItem=1 */
s_waitcnt vmcnt(0)                                 // lgkmcnt=-1 vmcnt=0wait for global read before writing to local
_ds_store_b128 v[vgprLocalWriteAddrB], v[vgprG2LB+24:vgprG2LB+24+3] offset:27648 // lwoB_0_0_6_0 = (0*LSCB)*(MT1J+PAD) + (6*LSPB) = 27648
v_mfma_f32_16x16x16_bf16 a[64+0:67+0], v[vgprValuB_X3_I0+4+0+0:vgprValuB_X3_I0+4+0+0+1], v[vgprValuA_X3_I0+8+0+0:vgprValuA_X3_I0+8+0+0+1], a[64:67]
/*  mfmaIndex:161  */
_buffer_load_b128 v[vgprG2LB+24:vgprG2LB+24+3], v[vgprGlobalReadOffsetB+0], s[sgprSrdB:sgprSrdB+3], s[sgprScalarGlobalReadOffsetB+5], offen offset:0 // G -> Reg 0_0_6_0
v_mfma_f32_16x16x16_bf16 a[68+0:71+0], v[vgprValuB_X3_I0+4+0+0:vgprValuB_X3_I0+4+0+0+1], v[vgprValuA_X3_I0+10+0+0:vgprValuA_X3_I0+10+0+0+1], a[68:71]
/*  mfmaIndex:162  */
v_mfma_f32_16x16x16_bf16 a[92+0:95+0], v[vgprValuB_X3_I0+6+0+0:vgprValuB_X3_I0+6+0+0+1], v[vgprValuA_X3_I0+10+0+0:vgprValuA_X3_I0+10+0+0+1], a[92:95]
/*  mfmaIndex:163  */
	;; [unrolled: 2-line block ×5, first 2 shown]
/* sched write - iter 3 writesPerItem=1 */
s_waitcnt vmcnt(0)                                 // lgkmcnt=-1 vmcnt=0wait for global read before writing to local
_ds_store_b128 v[vgprLocalWriteAddrB], v[vgprG2LB+28:vgprG2LB+28+3] offset:32256 // lwoB_0_0_7_0 = (0*LSCB)*(MT1J+PAD) + (7*LSPB) = 32256
v_mfma_f32_16x16x16_bf16 a[76+0:79+0], v[vgprValuB_X3_I0+6+0+0:vgprValuB_X3_I0+6+0+0+1], v[vgprValuA_X3_I0+2+0+0:vgprValuA_X3_I0+2+0+0+1], a[76:79]
/*  mfmaIndex:167  */
_buffer_load_b128 v[vgprG2LB+28:vgprG2LB+28+3], v[vgprGlobalReadOffsetB+0], s[sgprSrdB:sgprSrdB+3], s[sgprScalarGlobalReadOffsetB+6], offen offset:0 // G -> Reg 0_0_7_0

/* local write swap offsets a */

/* local write swap offsets b */
v_mfma_f32_16x16x16_bf16 a[72+0:75+0], v[vgprValuB_X3_I0+6+0+0:vgprValuB_X3_I0+6+0+0+1], v[vgprValuA_X3_I0+0+0+0:vgprValuA_X3_I0+0+0+0+1], a[72:75]
/*  mfmaIndex:168  */
v_mfma_f32_16x16x16_bf16 a[96+0:99+0], v[vgprValuB_X3_I0+8+0+0:vgprValuB_X3_I0+8+0+0+1], v[vgprValuA_X3_I0+0+0+0:vgprValuA_X3_I0+0+0+0+1], a[96:99]
/*  mfmaIndex:169  */
	;; [unrolled: 2-line block ×4, first 2 shown]
v_mfma_f32_16x16x16_bf16 a[108+0:111+0], v[vgprValuB_X3_I0+8+0+0:vgprValuB_X3_I0+8+0+0+1], v[vgprValuA_X3_I0+6+0+0:vgprValuA_X3_I0+6+0+0+1], a[108:111]
s_setprio 0                                        // store optimization
/*  mfmaIndex:172  */
s_waitcnt lgkmcnt(0)                               // lgkmcnt=0 vmcnt=-13wait for local write
// Skip force waitcnt0
s_barrier //
v_mfma_f32_16x16x16_bf16 a[112+0:115+0], v[vgprValuB_X3_I0+8+0+0:vgprValuB_X3_I0+8+0+0+1], v[vgprValuA_X3_I0+8+0+0:vgprValuA_X3_I0+8+0+0+1], a[112:115]
/*  mfmaIndex:173  */
s_setprio 3                                        // store optimization
_ds_load_b64 v[vgprValuA_X0_I0+0:vgprValuA_X0_I0+0+1], v[vgprLocalReadAddrA] offset:0 // L -> Reg lro=0 swapByteOffset=0 ti=32 vIdx=0 rIdx=0 oIdx=0 buffer=0 iui=0
v_mfma_f32_16x16x16_bf16 a[116+0:119+0], v[vgprValuB_X3_I0+8+0+0:vgprValuB_X3_I0+8+0+0+1], v[vgprValuA_X3_I0+10+0+0:vgprValuA_X3_I0+10+0+0+1], a[116:119]
/*  mfmaIndex:174  */
_ds_load_b64 v[vgprValuB_X0_I0+0:vgprValuB_X0_I0+0+1], v[vgprLocalReadAddrB] offset:0 // L -> Reg lro=0 swapByteOffset=0 ti=32 vIdx=0 rIdx=0 oIdx=0 buffer=0 iui=0
v_mfma_f32_16x16x16_bf16 a[140+0:143+0], v[vgprValuB_X3_I0+10+0+0:vgprValuB_X3_I0+10+0+0+1], v[vgprValuA_X3_I0+10+0+0:vgprValuA_X3_I0+10+0+0+1], a[140:143]
/*  mfmaIndex:175  */
_ds_load_b64 v[vgprValuA_X0_I0+2:vgprValuA_X0_I0+2+1], v[vgprLocalReadAddrA] offset:4352 // L -> Reg lro=0 swapByteOffset=0 ti=32 vIdx=1 rIdx=0 oIdx=0 buffer=0 iui=0
v_mfma_f32_16x16x16_bf16 a[136+0:139+0], v[vgprValuB_X3_I0+10+0+0:vgprValuB_X3_I0+10+0+0+1], v[vgprValuA_X3_I0+8+0+0:vgprValuA_X3_I0+8+0+0+1], a[136:139]
/*  mfmaIndex:176  */
_ds_load_b64 v[vgprValuA_X0_I0+4:vgprValuA_X0_I0+4+1], v[vgprLocalReadAddrA] offset:8704 // L -> Reg lro=0 swapByteOffset=0 ti=32 vIdx=2 rIdx=0 oIdx=0 buffer=0 iui=0
	;; [unrolled: 3-line block ×5, first 2 shown]
v_mfma_f32_16x16x16_bf16 a[120+0:123+0], v[vgprValuB_X3_I0+10+0+0:vgprValuB_X3_I0+10+0+0+1], v[vgprValuA_X3_I0+0+0+0:vgprValuA_X3_I0+0+0+0+1], a[120:123]
/*  mfmaIndex:180  */
_ds_load_b64 v[vgprValuB_X0_I0+2:vgprValuB_X0_I0+2+1], v[vgprLocalReadAddrB] offset:4608 // L -> Reg lro=0 swapByteOffset=0 ti=32 vIdx=1 rIdx=0 oIdx=0 buffer=0 iui=0
v_mfma_f32_16x16x16_bf16 a[144+0:147+0], v[vgprValuB_X3_I0+12+0+0:vgprValuB_X3_I0+12+0+0+1], v[vgprValuA_X3_I0+0+0+0:vgprValuA_X3_I0+0+0+0+1], a[144:147]
/*  mfmaIndex:181  */
_ds_load_b64 v[vgprValuB_X0_I0+4:vgprValuB_X0_I0+4+1], v[vgprLocalReadAddrB] offset:9216 // L -> Reg lro=0 swapByteOffset=0 ti=32 vIdx=2 rIdx=0 oIdx=0 buffer=0 iui=0
	;; [unrolled: 3-line block ×7, first 2 shown]
v_mfma_f32_16x16x16_bf16 a[188+0:191+0], v[vgprValuB_X3_I0+14+0+0:vgprValuB_X3_I0+14+0+0+1], v[vgprValuA_X3_I0+10+0+0:vgprValuA_X3_I0+10+0+0+1], a[188:191]
/*  mfmaIndex:187  */
v_mfma_f32_16x16x16_bf16 a[184+0:187+0], v[vgprValuB_X3_I0+14+0+0:vgprValuB_X3_I0+14+0+0+1], v[vgprValuA_X3_I0+8+0+0:vgprValuA_X3_I0+8+0+0+1], a[184:187]
/*  mfmaIndex:188  */
	;; [unrolled: 2-line block ×5, first 2 shown]
v_mfma_f32_16x16x16_bf16 a[168+0:171+0], v[vgprValuB_X3_I0+14+0+0:vgprValuB_X3_I0+14+0+0+1], v[vgprValuA_X3_I0+0+0+0:vgprValuA_X3_I0+0+0+0+1], a[168:171]
s_setprio 0                                        // store optimization


/******************************************/
/* Unrolled Loop - End 1/2                */
/******************************************/


/* closeLoop loopL finalLoop=0 tailLoop=0 */
s_sub_u32 s[sgprLoopCounterL], s[sgprLoopCounterL], 1 // dec counterL
s_cmp_eq_i32 s[sgprLoopCounterL], 0x2              // counterL==2
s_cbranch_scc1 LoopEndL_oddexit_3                  // exit LoopL


/******************************************/
/* Unrolled Loop 2/2 - Begin              */
/******************************************/

label_0016: // LoopCopy2 


/* Begin Each Unroll: Check VGPR.checkin for INT8 LW */


	;; [unrolled: 1-line block ×3, first 2 shown]
/* iter 0 */

/*  grEndMfmaIndex:12, lwStartMfmaIndex:51, lwEndMfmaIndex:167  */
/*  numMfmaForLR:19, barrierMfmaIndex:172, LocalWritePerMfma:0.165 */
/*  mfmaIndex:0  */
s_waitcnt lgkmcnt(0)                               // lgkmcnt=0 vmcnt=-1wait for prior local read local write old=0, new=0 newLW=0 newLR=0
v_mfma_f32_16x16x16_bf16 a[0+0:3+0], v[vgprValuB_X0_I0+0+0+0:vgprValuB_X0_I0+0+0+0+1], v[vgprValuA_X0_I0+0+0+0:vgprValuA_X0_I0+0+0+0+1], a[0:3]
/*  mfmaIndex:1  */
_ds_load_b64 v[vgprValuA_X1_I0+0:vgprValuA_X1_I0+0+1], v[vgprLocalReadAddrA] offset:32 // L -> Reg lro=16 swapByteOffset=0 ti=32 vIdx=0 rIdx=0 oIdx=0 buffer=1 iui=0

/* global read inc A loopL */
s_add_u32 s[sgprSrdA+0], s[sgprSrdA+0], s[sgprGlobalReadIncsA+0] // gra SRD += inc(lower)
v_mfma_f32_16x16x16_bf16 a[4+0:7+0], v[vgprValuB_X0_I0+0+0+0:vgprValuB_X0_I0+0+0+0+1], v[vgprValuA_X0_I0+2+0+0:vgprValuA_X0_I0+2+0+0+1], a[4:7]
/*  mfmaIndex:2  */
_ds_load_b64 v[vgprValuB_X1_I0+0:vgprValuB_X1_I0+0+1], v[vgprLocalReadAddrB] offset:32 // L -> Reg lro=16 swapByteOffset=0 ti=32 vIdx=0 rIdx=0 oIdx=0 buffer=1 iui=0
s_addc_u32  s[sgprSrdA+1], s[sgprSrdA+1], 0        // gra SRD += inc(upper)
v_mfma_f32_16x16x16_bf16 a[8+0:11+0], v[vgprValuB_X0_I0+0+0+0:vgprValuB_X0_I0+0+0+0+1], v[vgprValuA_X0_I0+4+0+0:vgprValuA_X0_I0+4+0+0+1], a[8:11]
/*  mfmaIndex:3  */
_ds_load_b64 v[vgprValuA_X1_I0+2:vgprValuA_X1_I0+2+1], v[vgprLocalReadAddrA] offset:4384 // L -> Reg lro=16 swapByteOffset=0 ti=32 vIdx=1 rIdx=0 oIdx=0 buffer=1 iui=0
s_sub_u32 s[sgprShadowLimitA+0], s[sgprShadowLimitA+0], s[sgprGlobalReadIncsA+0] // limit -= inc)
v_mfma_f32_16x16x16_bf16 a[12+0:15+0], v[vgprValuB_X0_I0+0+0+0:vgprValuB_X0_I0+0+0+0+1], v[vgprValuA_X0_I0+6+0+0:vgprValuA_X0_I0+6+0+0+1], a[12:15]
/*  mfmaIndex:4  */
_ds_load_b64 v[vgprValuA_X1_I0+4:vgprValuA_X1_I0+4+1], v[vgprLocalReadAddrA] offset:8736 // L -> Reg lro=16 swapByteOffset=0 ti=32 vIdx=2 rIdx=0 oIdx=0 buffer=1 iui=0
s_subb_u32 s[sgprShadowLimitA+1], s[sgprShadowLimitA+1], 0 // limit -= inc)
v_mfma_f32_16x16x16_bf16 a[16+0:19+0], v[vgprValuB_X0_I0+0+0+0:vgprValuB_X0_I0+0+0+0+1], v[vgprValuA_X0_I0+8+0+0:vgprValuA_X0_I0+8+0+0+1], a[16:19]
/*  mfmaIndex:5  */
_ds_load_b64 v[vgprValuA_X1_I0+6:vgprValuA_X1_I0+6+1], v[vgprLocalReadAddrA] offset:13088 // L -> Reg lro=16 swapByteOffset=0 ti=32 vIdx=3 rIdx=0 oIdx=0 buffer=1 iui=0
s_cmp_eq_u32 s[sgprShadowLimitA+1], 0              // are we within 2^32?
v_mfma_f32_16x16x16_bf16 a[20+0:23+0], v[vgprValuB_X0_I0+0+0+0:vgprValuB_X0_I0+0+0+0+1], v[vgprValuA_X0_I0+10+0+0:vgprValuA_X0_I0+10+0+0+1], a[20:23]
/*  mfmaIndex:6  */
_ds_load_b64 v[vgprValuA_X1_I0+8:vgprValuA_X1_I0+8+1], v[vgprLocalReadAddrA] offset:17440 // L -> Reg lro=16 swapByteOffset=0 ti=32 vIdx=4 rIdx=0 oIdx=0 buffer=1 iui=0
s_cmov_b32 s[sgprSrdA+2], s[sgprShadowLimitA+0]    // Move shadow to real if we are within 2^32
v_mfma_f32_16x16x16_bf16 a[44+0:47+0], v[vgprValuB_X0_I0+2+0+0:vgprValuB_X0_I0+2+0+0+1], v[vgprValuA_X0_I0+10+0+0:vgprValuA_X0_I0+10+0+0+1], a[44:47]
/*  mfmaIndex:7  */
_ds_load_b64 v[vgprValuA_X1_I0+10:vgprValuA_X1_I0+10+1], v[vgprLocalReadAddrA] offset:21792 // L -> Reg lro=16 swapByteOffset=0 ti=32 vIdx=5 rIdx=0 oIdx=0 buffer=1 iui=0

/* global read inc B loopL */
s_add_u32 s[sgprSrdB+0], s[sgprSrdB+0], s[sgprGlobalReadIncsB+0] // gra SRD += inc(lower)
v_mfma_f32_16x16x16_bf16 a[40+0:43+0], v[vgprValuB_X0_I0+2+0+0:vgprValuB_X0_I0+2+0+0+1], v[vgprValuA_X0_I0+8+0+0:vgprValuA_X0_I0+8+0+0+1], a[40:43]
/*  mfmaIndex:8  */
_ds_load_b64 v[vgprValuB_X1_I0+2:vgprValuB_X1_I0+2+1], v[vgprLocalReadAddrB] offset:4640 // L -> Reg lro=16 swapByteOffset=0 ti=32 vIdx=1 rIdx=0 oIdx=0 buffer=1 iui=0
s_addc_u32  s[sgprSrdB+1], s[sgprSrdB+1], 0        // gra SRD += inc(upper)
v_mfma_f32_16x16x16_bf16 a[36+0:39+0], v[vgprValuB_X0_I0+2+0+0:vgprValuB_X0_I0+2+0+0+1], v[vgprValuA_X0_I0+6+0+0:vgprValuA_X0_I0+6+0+0+1], a[36:39]
/*  mfmaIndex:9  */
_ds_load_b64 v[vgprValuB_X1_I0+4:vgprValuB_X1_I0+4+1], v[vgprLocalReadAddrB] offset:9248 // L -> Reg lro=16 swapByteOffset=0 ti=32 vIdx=2 rIdx=0 oIdx=0 buffer=1 iui=0
s_sub_u32 s[sgprShadowLimitB+0], s[sgprShadowLimitB+0], s[sgprGlobalReadIncsB+0] // limit -= inc)
v_mfma_f32_16x16x16_bf16 a[32+0:35+0], v[vgprValuB_X0_I0+2+0+0:vgprValuB_X0_I0+2+0+0+1], v[vgprValuA_X0_I0+4+0+0:vgprValuA_X0_I0+4+0+0+1], a[32:35]
/*  mfmaIndex:10  */
_ds_load_b64 v[vgprValuB_X1_I0+6:vgprValuB_X1_I0+6+1], v[vgprLocalReadAddrB] offset:13856 // L -> Reg lro=16 swapByteOffset=0 ti=32 vIdx=3 rIdx=0 oIdx=0 buffer=1 iui=0
s_subb_u32 s[sgprShadowLimitB+1], s[sgprShadowLimitB+1], 0 // limit -= inc)
v_mfma_f32_16x16x16_bf16 a[28+0:31+0], v[vgprValuB_X0_I0+2+0+0:vgprValuB_X0_I0+2+0+0+1], v[vgprValuA_X0_I0+2+0+0:vgprValuA_X0_I0+2+0+0+1], a[28:31]
/*  mfmaIndex:11  */
_ds_load_b64 v[vgprValuB_X1_I0+8:vgprValuB_X1_I0+8+1], v[vgprLocalReadAddrB] offset:18464 // L -> Reg lro=16 swapByteOffset=0 ti=32 vIdx=4 rIdx=0 oIdx=0 buffer=1 iui=0
s_cmp_eq_u32 s[sgprShadowLimitB+1], 0              // are we within 2^32?
v_mfma_f32_16x16x16_bf16 a[24+0:27+0], v[vgprValuB_X0_I0+2+0+0:vgprValuB_X0_I0+2+0+0+1], v[vgprValuA_X0_I0+0+0+0:vgprValuA_X0_I0+0+0+0+1], a[24:27]
/*  mfmaIndex:12  */
_ds_load_b64 v[vgprValuB_X1_I0+10:vgprValuB_X1_I0+10+1], v[vgprLocalReadAddrB] offset:23072 // L -> Reg lro=16 swapByteOffset=0 ti=32 vIdx=5 rIdx=0 oIdx=0 buffer=1 iui=0
s_cmov_b32 s[sgprSrdB+2], s[sgprShadowLimitB+0]    // Move shadow to real if we are within 2^32
v_mfma_f32_16x16x16_bf16 a[48+0:51+0], v[vgprValuB_X0_I0+4+0+0:vgprValuB_X0_I0+4+0+0+1], v[vgprValuA_X0_I0+0+0+0:vgprValuA_X0_I0+0+0+0+1], a[48:51]
/*  mfmaIndex:13  */
_ds_load_b64 v[vgprValuB_X1_I0+12:vgprValuB_X1_I0+12+1], v[vgprLocalReadAddrB] offset:27680 // L -> Reg lro=16 swapByteOffset=0 ti=32 vIdx=6 rIdx=0 oIdx=0 buffer=1 iui=0
v_mfma_f32_16x16x16_bf16 a[52+0:55+0], v[vgprValuB_X0_I0+4+0+0:vgprValuB_X0_I0+4+0+0+1], v[vgprValuA_X0_I0+2+0+0:vgprValuA_X0_I0+2+0+0+1], a[52:55]
/*  mfmaIndex:14  */
_ds_load_b64 v[vgprValuB_X1_I0+14:vgprValuB_X1_I0+14+1], v[vgprLocalReadAddrB] offset:32288 // L -> Reg lro=16 swapByteOffset=0 ti=32 vIdx=7 rIdx=0 oIdx=0 buffer=1 iui=0
v_mfma_f32_16x16x16_bf16 a[56+0:59+0], v[vgprValuB_X0_I0+4+0+0:vgprValuB_X0_I0+4+0+0+1], v[vgprValuA_X0_I0+4+0+0:vgprValuA_X0_I0+4+0+0+1], a[56:59]
/*  mfmaIndex:15  */
/* localReadsVacancy: latencyLeft 2 */
_ds_load_b64 v[vgprValuA_X2_I0+0:vgprValuA_X2_I0+0+1], v[vgprLocalReadAddrA] offset:64 // L -> Reg lro=32 swapByteOffset=0 ti=32 vIdx=0 rIdx=0 oIdx=0 buffer=2 iui=0
v_mfma_f32_16x16x16_bf16 a[60+0:63+0], v[vgprValuB_X0_I0+4+0+0:vgprValuB_X0_I0+4+0+0+1], v[vgprValuA_X0_I0+6+0+0:vgprValuA_X0_I0+6+0+0+1], a[60:63]
/*  mfmaIndex:16  */
/* localReadsVacancy: latencyLeft 2 */
_ds_load_b64 v[vgprValuB_X2_I0+0:vgprValuB_X2_I0+0+1], v[vgprLocalReadAddrB] offset:64 // L -> Reg lro=32 swapByteOffset=0 ti=32 vIdx=0 rIdx=0 oIdx=0 buffer=2 iui=0
v_mfma_f32_16x16x16_bf16 a[64+0:67+0], v[vgprValuB_X0_I0+4+0+0:vgprValuB_X0_I0+4+0+0+1], v[vgprValuA_X0_I0+8+0+0:vgprValuA_X0_I0+8+0+0+1], a[64:67]
/*  mfmaIndex:17  */
/* localReadsVacancy: latencyLeft 2 */
_ds_load_b64 v[vgprValuA_X2_I0+2:vgprValuA_X2_I0+2+1], v[vgprLocalReadAddrA] offset:4416 // L -> Reg lro=32 swapByteOffset=0 ti=32 vIdx=1 rIdx=0 oIdx=0 buffer=2 iui=0
v_mfma_f32_16x16x16_bf16 a[68+0:71+0], v[vgprValuB_X0_I0+4+0+0:vgprValuB_X0_I0+4+0+0+1], v[vgprValuA_X0_I0+10+0+0:vgprValuA_X0_I0+10+0+0+1], a[68:71]
/*  mfmaIndex:18  */
/* localReadsVacancy: latencyLeft 2 */
_ds_load_b64 v[vgprValuA_X2_I0+4:vgprValuA_X2_I0+4+1], v[vgprLocalReadAddrA] offset:8768 // L -> Reg lro=32 swapByteOffset=0 ti=32 vIdx=2 rIdx=0 oIdx=0 buffer=2 iui=0
	;; [unrolled: 4-line block ×5, first 2 shown]
v_mfma_f32_16x16x16_bf16 a[80+0:83+0], v[vgprValuB_X0_I0+6+0+0:vgprValuB_X0_I0+6+0+0+1], v[vgprValuA_X0_I0+4+0+0:vgprValuA_X0_I0+4+0+0+1], a[80:83]
/*  mfmaIndex:22  */
/* localReadsVacancy: latencyLeft 2 */
_ds_load_b64 v[vgprValuB_X2_I0+2:vgprValuB_X2_I0+2+1], v[vgprLocalReadAddrB] offset:4672 // L -> Reg lro=32 swapByteOffset=0 ti=32 vIdx=1 rIdx=0 oIdx=0 buffer=2 iui=0
v_mfma_f32_16x16x16_bf16 a[76+0:79+0], v[vgprValuB_X0_I0+6+0+0:vgprValuB_X0_I0+6+0+0+1], v[vgprValuA_X0_I0+2+0+0:vgprValuA_X0_I0+2+0+0+1], a[76:79]
/*  mfmaIndex:23  */
/* localReadsVacancy: latencyLeft 2 */
_ds_load_b64 v[vgprValuB_X2_I0+4:vgprValuB_X2_I0+4+1], v[vgprLocalReadAddrB] offset:9280 // L -> Reg lro=32 swapByteOffset=0 ti=32 vIdx=2 rIdx=0 oIdx=0 buffer=2 iui=0
	;; [unrolled: 4-line block ×7, first 2 shown]
v_mfma_f32_16x16x16_bf16 a[112+0:115+0], v[vgprValuB_X0_I0+8+0+0:vgprValuB_X0_I0+8+0+0+1], v[vgprValuA_X0_I0+8+0+0:vgprValuA_X0_I0+8+0+0+1], a[112:115]
/*  mfmaIndex:29  */
/* localReadsVacancy: latencyLeft 2 */
_ds_load_b64 v[vgprValuA_X3_I0+0:vgprValuA_X3_I0+0+1], v[vgprLocalReadAddrA] offset:96 // L -> Reg lro=48 swapByteOffset=0 ti=32 vIdx=0 rIdx=0 oIdx=0 buffer=3 iui=0
v_mfma_f32_16x16x16_bf16 a[116+0:119+0], v[vgprValuB_X0_I0+8+0+0:vgprValuB_X0_I0+8+0+0+1], v[vgprValuA_X0_I0+10+0+0:vgprValuA_X0_I0+10+0+0+1], a[116:119]
/*  mfmaIndex:30  */
/* localReadsVacancy: latencyLeft 2 */
_ds_load_b64 v[vgprValuB_X3_I0+0:vgprValuB_X3_I0+0+1], v[vgprLocalReadAddrB] offset:96 // L -> Reg lro=48 swapByteOffset=0 ti=32 vIdx=0 rIdx=0 oIdx=0 buffer=3 iui=0
v_mfma_f32_16x16x16_bf16 a[140+0:143+0], v[vgprValuB_X0_I0+10+0+0:vgprValuB_X0_I0+10+0+0+1], v[vgprValuA_X0_I0+10+0+0:vgprValuA_X0_I0+10+0+0+1], a[140:143]
/*  mfmaIndex:31  */
/* localReadsVacancy: latencyLeft 2 */
_ds_load_b64 v[vgprValuA_X3_I0+2:vgprValuA_X3_I0+2+1], v[vgprLocalReadAddrA] offset:4448 // L -> Reg lro=48 swapByteOffset=0 ti=32 vIdx=1 rIdx=0 oIdx=0 buffer=3 iui=0
v_mfma_f32_16x16x16_bf16 a[136+0:139+0], v[vgprValuB_X0_I0+10+0+0:vgprValuB_X0_I0+10+0+0+1], v[vgprValuA_X0_I0+8+0+0:vgprValuA_X0_I0+8+0+0+1], a[136:139]
/*  mfmaIndex:32  */
/* localReadsVacancy: latencyLeft 2 */
_ds_load_b64 v[vgprValuA_X3_I0+4:vgprValuA_X3_I0+4+1], v[vgprLocalReadAddrA] offset:8800 // L -> Reg lro=48 swapByteOffset=0 ti=32 vIdx=2 rIdx=0 oIdx=0 buffer=3 iui=0
	;; [unrolled: 4-line block ×5, first 2 shown]
v_mfma_f32_16x16x16_bf16 a[120+0:123+0], v[vgprValuB_X0_I0+10+0+0:vgprValuB_X0_I0+10+0+0+1], v[vgprValuA_X0_I0+0+0+0:vgprValuA_X0_I0+0+0+0+1], a[120:123]
/*  mfmaIndex:36  */
/* localReadsVacancy: latencyLeft 2 */
_ds_load_b64 v[vgprValuB_X3_I0+2:vgprValuB_X3_I0+2+1], v[vgprLocalReadAddrB] offset:4704 // L -> Reg lro=48 swapByteOffset=0 ti=32 vIdx=1 rIdx=0 oIdx=0 buffer=3 iui=0
v_mfma_f32_16x16x16_bf16 a[144+0:147+0], v[vgprValuB_X0_I0+12+0+0:vgprValuB_X0_I0+12+0+0+1], v[vgprValuA_X0_I0+0+0+0:vgprValuA_X0_I0+0+0+0+1], a[144:147]
/*  mfmaIndex:37  */
/* localReadsVacancy: latencyLeft 2 */
_ds_load_b64 v[vgprValuB_X3_I0+4:vgprValuB_X3_I0+4+1], v[vgprLocalReadAddrB] offset:9312 // L -> Reg lro=48 swapByteOffset=0 ti=32 vIdx=2 rIdx=0 oIdx=0 buffer=3 iui=0
	;; [unrolled: 4-line block ×7, first 2 shown]
v_mfma_f32_16x16x16_bf16 a[188+0:191+0], v[vgprValuB_X0_I0+14+0+0:vgprValuB_X0_I0+14+0+0+1], v[vgprValuA_X0_I0+10+0+0:vgprValuA_X0_I0+10+0+0+1], a[188:191]
/*  mfmaIndex:43  */
/* localReadsVacancy: latencyLeft 2 */
v_mfma_f32_16x16x16_bf16 a[184+0:187+0], v[vgprValuB_X0_I0+14+0+0:vgprValuB_X0_I0+14+0+0+1], v[vgprValuA_X0_I0+8+0+0:vgprValuA_X0_I0+8+0+0+1], a[184:187]
/*  mfmaIndex:44  */
/* localReadsVacancy: latencyLeft 2 */
	;; [unrolled: 3-line block ×5, first 2 shown]
v_mfma_f32_16x16x16_bf16 a[168+0:171+0], v[vgprValuB_X0_I0+14+0+0:vgprValuB_X0_I0+14+0+0+1], v[vgprValuA_X0_I0+0+0+0:vgprValuA_X0_I0+0+0+0+1], a[168:171]
/* numPrefetchIter=0 */
/* dataAtIterA=-1 numReadsIterA=1 skipReadsIterA=1 readsPerIterA=6 */
/* dataAtIterB=-1 numReadsIterB=1 skipReadsIterB=1 readsPerIterB=8 */


/* iter 1 */

/*  grEndMfmaIndex:12, lwStartMfmaIndex:51, lwEndMfmaIndex:167  */
/*  numMfmaForLR:19, barrierMfmaIndex:172, LocalWritePerMfma:0.165 */
/*  mfmaIndex:48  */
/* localReadsVacancy: latencyLeft 2 */
s_waitcnt lgkmcnt(15)                              // lgkmcnt=0 vmcnt=-1wait for prior local read local write old=14, new=14 newLW=0 newLR=0
v_mfma_f32_16x16x16_bf16 a[0+0:3+0], v[vgprValuB_X1_I0+0+0+0:vgprValuB_X1_I0+0+0+0+1], v[vgprValuA_X1_I0+0+0+0:vgprValuA_X1_I0+0+0+0+1], a[0:3]
/*  mfmaIndex:49  */
/* localReadsVacancy: latencyLeft 2 */
v_mfma_f32_16x16x16_bf16 a[4+0:7+0], v[vgprValuB_X1_I0+0+0+0:vgprValuB_X1_I0+0+0+0+1], v[vgprValuA_X1_I0+2+0+0:vgprValuA_X1_I0+2+0+0+1], a[4:7]
/*  mfmaIndex:50  */
/* localReadsVacancy: latencyLeft 2 */
/* 1 LDS buffer: read-sync-write */
s_waitcnt lgkmcnt(0)                               // 
s_barrier                                          // 
v_mfma_f32_16x16x16_bf16 a[8+0:11+0], v[vgprValuB_X1_I0+0+0+0:vgprValuB_X1_I0+0+0+0+1], v[vgprValuA_X1_I0+4+0+0:vgprValuA_X1_I0+4+0+0+1], a[8:11]
/*  mfmaIndex:51  */
s_setprio 3                                        // store optimization
/* sched write - iter 1 writesPerItem=1 */
s_waitcnt vmcnt(0)                                 // lgkmcnt=-1 vmcnt=0wait for global read before writing to local
_ds_store_b64 v[vgprLocalWriteAddrA], v[vgprG2LA+0:vgprG2LA+0+1] offset:0 // lwoA_0_0_0_0 = (0*LSCA)*(MT0I+PAD) + (0*LSPA) = 0
v_mfma_f32_16x16x16_bf16 a[12+0:15+0], v[vgprValuB_X1_I0+0+0+0:vgprValuB_X1_I0+0+0+0+1], v[vgprValuA_X1_I0+6+0+0:vgprValuA_X1_I0+6+0+0+1], a[12:15]
/*  mfmaIndex:52  */
_buffer_load_b64 v[vgprG2LA+0:vgprG2LA+0+1], v[vgprGlobalReadOffsetA+0], s[sgprSrdA:sgprSrdA+3], 0, offen offset:0 // G -> Reg 0_0_0_0
v_mfma_f32_16x16x16_bf16 a[16+0:19+0], v[vgprValuB_X1_I0+0+0+0:vgprValuB_X1_I0+0+0+0+1], v[vgprValuA_X1_I0+8+0+0:vgprValuA_X1_I0+8+0+0+1], a[16:19]
/*  mfmaIndex:53  */
v_mfma_f32_16x16x16_bf16 a[20+0:23+0], v[vgprValuB_X1_I0+0+0+0:vgprValuB_X1_I0+0+0+0+1], v[vgprValuA_X1_I0+10+0+0:vgprValuA_X1_I0+10+0+0+1], a[20:23]
/*  mfmaIndex:54  */
	;; [unrolled: 2-line block ×5, first 2 shown]
/* sched write - iter 1 writesPerItem=1 */
s_waitcnt vmcnt(0)                                 // lgkmcnt=-1 vmcnt=0wait for global read before writing to local
_ds_store_b64 v[vgprLocalWriteAddrA], v[vgprG2LA+2:vgprG2LA+2+1] offset:2176 // lwoA_0_0_1_0 = (0*LSCA)*(MT0I+PAD) + (1*LSPA) = 2176
v_mfma_f32_16x16x16_bf16 a[32+0:35+0], v[vgprValuB_X1_I0+2+0+0:vgprValuB_X1_I0+2+0+0+1], v[vgprValuA_X1_I0+4+0+0:vgprValuA_X1_I0+4+0+0+1], a[32:35]
/*  mfmaIndex:58  */
_buffer_load_b64 v[vgprG2LA+2:vgprG2LA+2+1], v[vgprGlobalReadOffsetA+0], s[sgprSrdA:sgprSrdA+3], s[sgprScalarGlobalReadOffsetA+0], offen offset:0 // G -> Reg 0_0_1_0
v_mfma_f32_16x16x16_bf16 a[28+0:31+0], v[vgprValuB_X1_I0+2+0+0:vgprValuB_X1_I0+2+0+0+1], v[vgprValuA_X1_I0+2+0+0:vgprValuA_X1_I0+2+0+0+1], a[28:31]
/*  mfmaIndex:59  */
v_mfma_f32_16x16x16_bf16 a[24+0:27+0], v[vgprValuB_X1_I0+2+0+0:vgprValuB_X1_I0+2+0+0+1], v[vgprValuA_X1_I0+0+0+0:vgprValuA_X1_I0+0+0+0+1], a[24:27]
/*  mfmaIndex:60  */
	;; [unrolled: 2-line block ×5, first 2 shown]
/* sched write - iter 1 writesPerItem=1 */
s_waitcnt vmcnt(0)                                 // lgkmcnt=-1 vmcnt=0wait for global read before writing to local
_ds_store_b64 v[vgprLocalWriteAddrA], v[vgprG2LA+4:vgprG2LA+4+1] offset:4352 // lwoA_0_0_2_0 = (0*LSCA)*(MT0I+PAD) + (2*LSPA) = 4352
v_mfma_f32_16x16x16_bf16 a[60+0:63+0], v[vgprValuB_X1_I0+4+0+0:vgprValuB_X1_I0+4+0+0+1], v[vgprValuA_X1_I0+6+0+0:vgprValuA_X1_I0+6+0+0+1], a[60:63]
/*  mfmaIndex:64  */
_buffer_load_b64 v[vgprG2LA+4:vgprG2LA+4+1], v[vgprGlobalReadOffsetA+0], s[sgprSrdA:sgprSrdA+3], s[sgprScalarGlobalReadOffsetA+1], offen offset:0 // G -> Reg 0_0_2_0
v_mfma_f32_16x16x16_bf16 a[64+0:67+0], v[vgprValuB_X1_I0+4+0+0:vgprValuB_X1_I0+4+0+0+1], v[vgprValuA_X1_I0+8+0+0:vgprValuA_X1_I0+8+0+0+1], a[64:67]
/*  mfmaIndex:65  */
v_mfma_f32_16x16x16_bf16 a[68+0:71+0], v[vgprValuB_X1_I0+4+0+0:vgprValuB_X1_I0+4+0+0+1], v[vgprValuA_X1_I0+10+0+0:vgprValuA_X1_I0+10+0+0+1], a[68:71]
/*  mfmaIndex:66  */
	;; [unrolled: 2-line block ×5, first 2 shown]
/* sched write - iter 1 writesPerItem=1 */
s_waitcnt vmcnt(0)                                 // lgkmcnt=-1 vmcnt=0wait for global read before writing to local
_ds_store_b64 v[vgprLocalWriteAddrA], v[vgprG2LA+6:vgprG2LA+6+1] offset:6528 // lwoA_0_0_3_0 = (0*LSCA)*(MT0I+PAD) + (3*LSPA) = 6528
v_mfma_f32_16x16x16_bf16 a[80+0:83+0], v[vgprValuB_X1_I0+6+0+0:vgprValuB_X1_I0+6+0+0+1], v[vgprValuA_X1_I0+4+0+0:vgprValuA_X1_I0+4+0+0+1], a[80:83]
/*  mfmaIndex:70  */
_buffer_load_b64 v[vgprG2LA+6:vgprG2LA+6+1], v[vgprGlobalReadOffsetA+0], s[sgprSrdA:sgprSrdA+3], s[sgprScalarGlobalReadOffsetA+2], offen offset:0 // G -> Reg 0_0_3_0
v_mfma_f32_16x16x16_bf16 a[76+0:79+0], v[vgprValuB_X1_I0+6+0+0:vgprValuB_X1_I0+6+0+0+1], v[vgprValuA_X1_I0+2+0+0:vgprValuA_X1_I0+2+0+0+1], a[76:79]
/*  mfmaIndex:71  */
v_mfma_f32_16x16x16_bf16 a[72+0:75+0], v[vgprValuB_X1_I0+6+0+0:vgprValuB_X1_I0+6+0+0+1], v[vgprValuA_X1_I0+0+0+0:vgprValuA_X1_I0+0+0+0+1], a[72:75]
/*  mfmaIndex:72  */
	;; [unrolled: 2-line block ×5, first 2 shown]
/* sched write - iter 1 writesPerItem=1 */
s_waitcnt vmcnt(0)                                 // lgkmcnt=-1 vmcnt=0wait for global read before writing to local
_ds_store_b64 v[vgprLocalWriteAddrA], v[vgprG2LA+8:vgprG2LA+8+1] offset:8704 // lwoA_0_0_4_0 = (0*LSCA)*(MT0I+PAD) + (4*LSPA) = 8704
v_mfma_f32_16x16x16_bf16 a[108+0:111+0], v[vgprValuB_X1_I0+8+0+0:vgprValuB_X1_I0+8+0+0+1], v[vgprValuA_X1_I0+6+0+0:vgprValuA_X1_I0+6+0+0+1], a[108:111]
/*  mfmaIndex:76  */
_buffer_load_b64 v[vgprG2LA+8:vgprG2LA+8+1], v[vgprGlobalReadOffsetA+0], s[sgprSrdA:sgprSrdA+3], s[sgprScalarGlobalReadOffsetA+3], offen offset:0 // G -> Reg 0_0_4_0
v_mfma_f32_16x16x16_bf16 a[112+0:115+0], v[vgprValuB_X1_I0+8+0+0:vgprValuB_X1_I0+8+0+0+1], v[vgprValuA_X1_I0+8+0+0:vgprValuA_X1_I0+8+0+0+1], a[112:115]
/*  mfmaIndex:77  */
v_mfma_f32_16x16x16_bf16 a[116+0:119+0], v[vgprValuB_X1_I0+8+0+0:vgprValuB_X1_I0+8+0+0+1], v[vgprValuA_X1_I0+10+0+0:vgprValuA_X1_I0+10+0+0+1], a[116:119]
/*  mfmaIndex:78  */
v_mfma_f32_16x16x16_bf16 a[140+0:143+0], v[vgprValuB_X1_I0+10+0+0:vgprValuB_X1_I0+10+0+0+1], v[vgprValuA_X1_I0+10+0+0:vgprValuA_X1_I0+10+0+0+1], a[140:143]
/*  mfmaIndex:79  */
v_mfma_f32_16x16x16_bf16 a[136+0:139+0], v[vgprValuB_X1_I0+10+0+0:vgprValuB_X1_I0+10+0+0+1], v[vgprValuA_X1_I0+8+0+0:vgprValuA_X1_I0+8+0+0+1], a[136:139]
/*  mfmaIndex:80  */
v_mfma_f32_16x16x16_bf16 a[132+0:135+0], v[vgprValuB_X1_I0+10+0+0:vgprValuB_X1_I0+10+0+0+1], v[vgprValuA_X1_I0+6+0+0:vgprValuA_X1_I0+6+0+0+1], a[132:135]
/*  mfmaIndex:81  */
/* sched write - iter 1 writesPerItem=1 */
s_waitcnt vmcnt(0)                                 // lgkmcnt=-1 vmcnt=0wait for global read before writing to local
_ds_store_b64 v[vgprLocalWriteAddrA], v[vgprG2LA+10:vgprG2LA+10+1] offset:10880 // lwoA_0_0_5_0 = (0*LSCA)*(MT0I+PAD) + (5*LSPA) = 10880
v_mfma_f32_16x16x16_bf16 a[128+0:131+0], v[vgprValuB_X1_I0+10+0+0:vgprValuB_X1_I0+10+0+0+1], v[vgprValuA_X1_I0+4+0+0:vgprValuA_X1_I0+4+0+0+1], a[128:131]
/*  mfmaIndex:82  */
_buffer_load_b64 v[vgprG2LA+10:vgprG2LA+10+1], v[vgprGlobalReadOffsetA+0], s[sgprSrdA:sgprSrdA+3], s[sgprScalarGlobalReadOffsetA+4], offen offset:0 // G -> Reg 0_0_5_0
v_mfma_f32_16x16x16_bf16 a[124+0:127+0], v[vgprValuB_X1_I0+10+0+0:vgprValuB_X1_I0+10+0+0+1], v[vgprValuA_X1_I0+2+0+0:vgprValuA_X1_I0+2+0+0+1], a[124:127]
/*  mfmaIndex:83  */
v_mfma_f32_16x16x16_bf16 a[120+0:123+0], v[vgprValuB_X1_I0+10+0+0:vgprValuB_X1_I0+10+0+0+1], v[vgprValuA_X1_I0+0+0+0:vgprValuA_X1_I0+0+0+0+1], a[120:123]
/*  mfmaIndex:84  */
	;; [unrolled: 2-line block ×5, first 2 shown]
/* sched write - iter 1 writesPerItem=1 */
s_waitcnt vmcnt(0)                                 // lgkmcnt=-1 vmcnt=0wait for global read before writing to local
_ds_store_b64 v[vgprLocalWriteAddrA], v[vgprG2LA+12:vgprG2LA+12+1] offset:13056 // lwoA_0_0_6_0 = (0*LSCA)*(MT0I+PAD) + (6*LSPA) = 13056
v_mfma_f32_16x16x16_bf16 a[156+0:159+0], v[vgprValuB_X1_I0+12+0+0:vgprValuB_X1_I0+12+0+0+1], v[vgprValuA_X1_I0+6+0+0:vgprValuA_X1_I0+6+0+0+1], a[156:159]
/*  mfmaIndex:88  */
_buffer_load_b64 v[vgprG2LA+12:vgprG2LA+12+1], v[vgprGlobalReadOffsetA+0], s[sgprSrdA:sgprSrdA+3], s[sgprScalarGlobalReadOffsetA+5], offen offset:0 // G -> Reg 0_0_6_0
v_mfma_f32_16x16x16_bf16 a[160+0:163+0], v[vgprValuB_X1_I0+12+0+0:vgprValuB_X1_I0+12+0+0+1], v[vgprValuA_X1_I0+8+0+0:vgprValuA_X1_I0+8+0+0+1], a[160:163]
/*  mfmaIndex:89  */
v_mfma_f32_16x16x16_bf16 a[164+0:167+0], v[vgprValuB_X1_I0+12+0+0:vgprValuB_X1_I0+12+0+0+1], v[vgprValuA_X1_I0+10+0+0:vgprValuA_X1_I0+10+0+0+1], a[164:167]
/*  mfmaIndex:90  */
v_mfma_f32_16x16x16_bf16 a[188+0:191+0], v[vgprValuB_X1_I0+14+0+0:vgprValuB_X1_I0+14+0+0+1], v[vgprValuA_X1_I0+10+0+0:vgprValuA_X1_I0+10+0+0+1], a[188:191]
/*  mfmaIndex:91  */
v_mfma_f32_16x16x16_bf16 a[184+0:187+0], v[vgprValuB_X1_I0+14+0+0:vgprValuB_X1_I0+14+0+0+1], v[vgprValuA_X1_I0+8+0+0:vgprValuA_X1_I0+8+0+0+1], a[184:187]
/*  mfmaIndex:92  */
v_mfma_f32_16x16x16_bf16 a[180+0:183+0], v[vgprValuB_X1_I0+14+0+0:vgprValuB_X1_I0+14+0+0+1], v[vgprValuA_X1_I0+6+0+0:vgprValuA_X1_I0+6+0+0+1], a[180:183]
/*  mfmaIndex:93  */
/* sched write - iter 1 writesPerItem=1 */
s_waitcnt vmcnt(0)                                 // lgkmcnt=-1 vmcnt=0wait for global read before writing to local
_ds_store_b64 v[vgprLocalWriteAddrA], v[vgprG2LA+14:vgprG2LA+14+1] offset:15232 // lwoA_0_0_7_0 = (0*LSCA)*(MT0I+PAD) + (7*LSPA) = 15232
v_mfma_f32_16x16x16_bf16 a[176+0:179+0], v[vgprValuB_X1_I0+14+0+0:vgprValuB_X1_I0+14+0+0+1], v[vgprValuA_X1_I0+4+0+0:vgprValuA_X1_I0+4+0+0+1], a[176:179]
/*  mfmaIndex:94  */
_buffer_load_b64 v[vgprG2LA+14:vgprG2LA+14+1], v[vgprGlobalReadOffsetA+0], s[sgprSrdA:sgprSrdA+3], s[sgprScalarGlobalReadOffsetA+6], offen offset:0 // G -> Reg 0_0_7_0
v_mfma_f32_16x16x16_bf16 a[172+0:175+0], v[vgprValuB_X1_I0+14+0+0:vgprValuB_X1_I0+14+0+0+1], v[vgprValuA_X1_I0+2+0+0:vgprValuA_X1_I0+2+0+0+1], a[172:175]
/*  mfmaIndex:95  */
v_mfma_f32_16x16x16_bf16 a[168+0:171+0], v[vgprValuB_X1_I0+14+0+0:vgprValuB_X1_I0+14+0+0+1], v[vgprValuA_X1_I0+0+0+0:vgprValuA_X1_I0+0+0+0+1], a[168:171]
/* numPrefetchIter=0 */
/* dataAtIterA=0 numReadsIterA=2 skipReadsIterA=1 readsPerIterA=6 */
/* dataAtIterB=0 numReadsIterB=2 skipReadsIterB=1 readsPerIterB=8 */


/* iter 2 (reset local read pointers iteration)  (swap local read pointers iteration)  */

/*  grEndMfmaIndex:12, lwStartMfmaIndex:51, lwEndMfmaIndex:167  */
/*  numMfmaForLR:19, barrierMfmaIndex:172, LocalWritePerMfma:0.165 */
/*  mfmaIndex:96  */
v_mfma_f32_16x16x16_bf16 a[0+0:3+0], v[vgprValuB_X2_I0+0+0+0:vgprValuB_X2_I0+0+0+0+1], v[vgprValuA_X2_I0+0+0+0:vgprValuA_X2_I0+0+0+0+1], a[0:3]
/*  mfmaIndex:97  */
v_mfma_f32_16x16x16_bf16 a[4+0:7+0], v[vgprValuB_X2_I0+0+0+0:vgprValuB_X2_I0+0+0+0+1], v[vgprValuA_X2_I0+2+0+0:vgprValuA_X2_I0+2+0+0+1], a[4:7]
	;; [unrolled: 2-line block ×3, first 2 shown]
/*  mfmaIndex:99  */
/* sched write - iter 2 writesPerItem=1 */
s_waitcnt vmcnt(0)                                 // lgkmcnt=-1 vmcnt=0wait for global read before writing to local
_ds_store_b64 v[vgprLocalWriteAddrA], v[vgprG2LA+16:vgprG2LA+16+1] offset:17408 // lwoA_0_0_8_0 = (0*LSCA)*(MT0I+PAD) + (8*LSPA) = 17408
v_mfma_f32_16x16x16_bf16 a[12+0:15+0], v[vgprValuB_X2_I0+0+0+0:vgprValuB_X2_I0+0+0+0+1], v[vgprValuA_X2_I0+6+0+0:vgprValuA_X2_I0+6+0+0+1], a[12:15]
/*  mfmaIndex:100  */
_buffer_load_b64 v[vgprG2LA+16:vgprG2LA+16+1], v[vgprGlobalReadOffsetA+0], s[sgprSrdA:sgprSrdA+3], s[sgprScalarGlobalReadOffsetA+7], offen offset:0 // G -> Reg 0_0_8_0
v_mfma_f32_16x16x16_bf16 a[16+0:19+0], v[vgprValuB_X2_I0+0+0+0:vgprValuB_X2_I0+0+0+0+1], v[vgprValuA_X2_I0+8+0+0:vgprValuA_X2_I0+8+0+0+1], a[16:19]
/*  mfmaIndex:101  */
v_mfma_f32_16x16x16_bf16 a[20+0:23+0], v[vgprValuB_X2_I0+0+0+0:vgprValuB_X2_I0+0+0+0+1], v[vgprValuA_X2_I0+10+0+0:vgprValuA_X2_I0+10+0+0+1], a[20:23]
/*  mfmaIndex:102  */
	;; [unrolled: 2-line block ×5, first 2 shown]
/* sched write - iter 2 writesPerItem=1 */
s_waitcnt vmcnt(0)                                 // lgkmcnt=-1 vmcnt=0wait for global read before writing to local
_ds_store_b64 v[vgprLocalWriteAddrA], v[vgprG2LA+18:vgprG2LA+18+1] offset:19584 // lwoA_0_0_9_0 = (0*LSCA)*(MT0I+PAD) + (9*LSPA) = 19584
v_mfma_f32_16x16x16_bf16 a[32+0:35+0], v[vgprValuB_X2_I0+2+0+0:vgprValuB_X2_I0+2+0+0+1], v[vgprValuA_X2_I0+4+0+0:vgprValuA_X2_I0+4+0+0+1], a[32:35]
/*  mfmaIndex:106  */
_buffer_load_b64 v[vgprG2LA+18:vgprG2LA+18+1], v[vgprGlobalReadOffsetA+0], s[sgprSrdA:sgprSrdA+3], s[sgprScalarGlobalReadOffsetA+8], offen offset:0 // G -> Reg 0_0_9_0
v_mfma_f32_16x16x16_bf16 a[28+0:31+0], v[vgprValuB_X2_I0+2+0+0:vgprValuB_X2_I0+2+0+0+1], v[vgprValuA_X2_I0+2+0+0:vgprValuA_X2_I0+2+0+0+1], a[28:31]
/*  mfmaIndex:107  */
v_mfma_f32_16x16x16_bf16 a[24+0:27+0], v[vgprValuB_X2_I0+2+0+0:vgprValuB_X2_I0+2+0+0+1], v[vgprValuA_X2_I0+0+0+0:vgprValuA_X2_I0+0+0+0+1], a[24:27]
/*  mfmaIndex:108  */
	;; [unrolled: 2-line block ×5, first 2 shown]
/* sched write - iter 2 writesPerItem=1 */
s_waitcnt vmcnt(0)                                 // lgkmcnt=-1 vmcnt=0wait for global read before writing to local
_ds_store_b64 v[vgprLocalWriteAddrA], v[vgprG2LA+20:vgprG2LA+20+1] offset:21760 // lwoA_0_0_10_0 = (0*LSCA)*(MT0I+PAD) + (10*LSPA) = 21760
v_mfma_f32_16x16x16_bf16 a[60+0:63+0], v[vgprValuB_X2_I0+4+0+0:vgprValuB_X2_I0+4+0+0+1], v[vgprValuA_X2_I0+6+0+0:vgprValuA_X2_I0+6+0+0+1], a[60:63]
/*  mfmaIndex:112  */
_buffer_load_b64 v[vgprG2LA+20:vgprG2LA+20+1], v[vgprGlobalReadOffsetA+0], s[sgprSrdA:sgprSrdA+3], s[sgprScalarGlobalReadOffsetA+9], offen offset:0 // G -> Reg 0_0_10_0
v_mfma_f32_16x16x16_bf16 a[64+0:67+0], v[vgprValuB_X2_I0+4+0+0:vgprValuB_X2_I0+4+0+0+1], v[vgprValuA_X2_I0+8+0+0:vgprValuA_X2_I0+8+0+0+1], a[64:67]
/*  mfmaIndex:113  */
v_mfma_f32_16x16x16_bf16 a[68+0:71+0], v[vgprValuB_X2_I0+4+0+0:vgprValuB_X2_I0+4+0+0+1], v[vgprValuA_X2_I0+10+0+0:vgprValuA_X2_I0+10+0+0+1], a[68:71]
/*  mfmaIndex:114  */
	;; [unrolled: 2-line block ×5, first 2 shown]
/* sched write - iter 2 writesPerItem=1 */
s_waitcnt vmcnt(0)                                 // lgkmcnt=-1 vmcnt=0wait for global read before writing to local
_ds_store_b64 v[vgprLocalWriteAddrA], v[vgprG2LA+22:vgprG2LA+22+1] offset:23936 // lwoA_0_0_11_0 = (0*LSCA)*(MT0I+PAD) + (11*LSPA) = 23936
v_mfma_f32_16x16x16_bf16 a[80+0:83+0], v[vgprValuB_X2_I0+6+0+0:vgprValuB_X2_I0+6+0+0+1], v[vgprValuA_X2_I0+4+0+0:vgprValuA_X2_I0+4+0+0+1], a[80:83]
/*  mfmaIndex:118  */
_buffer_load_b64 v[vgprG2LA+22:vgprG2LA+22+1], v[vgprGlobalReadOffsetA+0], s[sgprSrdA:sgprSrdA+3], s[sgprScalarGlobalReadOffsetA+10], offen offset:0 // G -> Reg 0_0_11_0
v_mfma_f32_16x16x16_bf16 a[76+0:79+0], v[vgprValuB_X2_I0+6+0+0:vgprValuB_X2_I0+6+0+0+1], v[vgprValuA_X2_I0+2+0+0:vgprValuA_X2_I0+2+0+0+1], a[76:79]
/*  mfmaIndex:119  */
v_mfma_f32_16x16x16_bf16 a[72+0:75+0], v[vgprValuB_X2_I0+6+0+0:vgprValuB_X2_I0+6+0+0+1], v[vgprValuA_X2_I0+0+0+0:vgprValuA_X2_I0+0+0+0+1], a[72:75]
/*  mfmaIndex:120  */
	;; [unrolled: 2-line block ×5, first 2 shown]
/* sched write - iter 2 writesPerItem=1 */
s_waitcnt vmcnt(0)                                 // lgkmcnt=-1 vmcnt=0wait for global read before writing to local
_ds_store_b128 v[vgprLocalWriteAddrB], v[vgprG2LB+0:vgprG2LB+0+3] offset:0 // lwoB_0_0_0_0 = (0*LSCB)*(MT1J+PAD) + (0*LSPB) = 0
v_mfma_f32_16x16x16_bf16 a[108+0:111+0], v[vgprValuB_X2_I0+8+0+0:vgprValuB_X2_I0+8+0+0+1], v[vgprValuA_X2_I0+6+0+0:vgprValuA_X2_I0+6+0+0+1], a[108:111]
/*  mfmaIndex:124  */
_buffer_load_b128 v[vgprG2LB+0:vgprG2LB+0+3], v[vgprGlobalReadOffsetB+0], s[sgprSrdB:sgprSrdB+3], 0, offen offset:0 // G -> Reg 0_0_0_0
v_mfma_f32_16x16x16_bf16 a[112+0:115+0], v[vgprValuB_X2_I0+8+0+0:vgprValuB_X2_I0+8+0+0+1], v[vgprValuA_X2_I0+8+0+0:vgprValuA_X2_I0+8+0+0+1], a[112:115]
/*  mfmaIndex:125  */
v_mfma_f32_16x16x16_bf16 a[116+0:119+0], v[vgprValuB_X2_I0+8+0+0:vgprValuB_X2_I0+8+0+0+1], v[vgprValuA_X2_I0+10+0+0:vgprValuA_X2_I0+10+0+0+1], a[116:119]
/*  mfmaIndex:126  */
	;; [unrolled: 2-line block ×5, first 2 shown]
/* sched write - iter 2 writesPerItem=1 */
s_waitcnt vmcnt(0)                                 // lgkmcnt=-1 vmcnt=0wait for global read before writing to local
_ds_store_b128 v[vgprLocalWriteAddrB], v[vgprG2LB+4:vgprG2LB+4+3] offset:4608 // lwoB_0_0_1_0 = (0*LSCB)*(MT1J+PAD) + (1*LSPB) = 4608
v_mfma_f32_16x16x16_bf16 a[128+0:131+0], v[vgprValuB_X2_I0+10+0+0:vgprValuB_X2_I0+10+0+0+1], v[vgprValuA_X2_I0+4+0+0:vgprValuA_X2_I0+4+0+0+1], a[128:131]
/*  mfmaIndex:130  */
_buffer_load_b128 v[vgprG2LB+4:vgprG2LB+4+3], v[vgprGlobalReadOffsetB+0], s[sgprSrdB:sgprSrdB+3], s[sgprScalarGlobalReadOffsetB+0], offen offset:0 // G -> Reg 0_0_1_0
v_mfma_f32_16x16x16_bf16 a[124+0:127+0], v[vgprValuB_X2_I0+10+0+0:vgprValuB_X2_I0+10+0+0+1], v[vgprValuA_X2_I0+2+0+0:vgprValuA_X2_I0+2+0+0+1], a[124:127]
/*  mfmaIndex:131  */
v_mfma_f32_16x16x16_bf16 a[120+0:123+0], v[vgprValuB_X2_I0+10+0+0:vgprValuB_X2_I0+10+0+0+1], v[vgprValuA_X2_I0+0+0+0:vgprValuA_X2_I0+0+0+0+1], a[120:123]
/*  mfmaIndex:132  */
	;; [unrolled: 2-line block ×5, first 2 shown]
/* sched write - iter 2 writesPerItem=1 */
s_waitcnt vmcnt(0)                                 // lgkmcnt=-1 vmcnt=0wait for global read before writing to local
_ds_store_b128 v[vgprLocalWriteAddrB], v[vgprG2LB+8:vgprG2LB+8+3] offset:9216 // lwoB_0_0_2_0 = (0*LSCB)*(MT1J+PAD) + (2*LSPB) = 9216
v_mfma_f32_16x16x16_bf16 a[156+0:159+0], v[vgprValuB_X2_I0+12+0+0:vgprValuB_X2_I0+12+0+0+1], v[vgprValuA_X2_I0+6+0+0:vgprValuA_X2_I0+6+0+0+1], a[156:159]
/*  mfmaIndex:136  */
_buffer_load_b128 v[vgprG2LB+8:vgprG2LB+8+3], v[vgprGlobalReadOffsetB+0], s[sgprSrdB:sgprSrdB+3], s[sgprScalarGlobalReadOffsetB+1], offen offset:0 // G -> Reg 0_0_2_0
v_mfma_f32_16x16x16_bf16 a[160+0:163+0], v[vgprValuB_X2_I0+12+0+0:vgprValuB_X2_I0+12+0+0+1], v[vgprValuA_X2_I0+8+0+0:vgprValuA_X2_I0+8+0+0+1], a[160:163]
/*  mfmaIndex:137  */
v_mfma_f32_16x16x16_bf16 a[164+0:167+0], v[vgprValuB_X2_I0+12+0+0:vgprValuB_X2_I0+12+0+0+1], v[vgprValuA_X2_I0+10+0+0:vgprValuA_X2_I0+10+0+0+1], a[164:167]
/*  mfmaIndex:138  */
v_mfma_f32_16x16x16_bf16 a[188+0:191+0], v[vgprValuB_X2_I0+14+0+0:vgprValuB_X2_I0+14+0+0+1], v[vgprValuA_X2_I0+10+0+0:vgprValuA_X2_I0+10+0+0+1], a[188:191]
/*  mfmaIndex:139  */
v_mfma_f32_16x16x16_bf16 a[184+0:187+0], v[vgprValuB_X2_I0+14+0+0:vgprValuB_X2_I0+14+0+0+1], v[vgprValuA_X2_I0+8+0+0:vgprValuA_X2_I0+8+0+0+1], a[184:187]
/*  mfmaIndex:140  */
v_mfma_f32_16x16x16_bf16 a[180+0:183+0], v[vgprValuB_X2_I0+14+0+0:vgprValuB_X2_I0+14+0+0+1], v[vgprValuA_X2_I0+6+0+0:vgprValuA_X2_I0+6+0+0+1], a[180:183]
/*  mfmaIndex:141  */
/* sched write - iter 2 writesPerItem=1 */
s_waitcnt vmcnt(0)                                 // lgkmcnt=-1 vmcnt=0wait for global read before writing to local
_ds_store_b128 v[vgprLocalWriteAddrB], v[vgprG2LB+12:vgprG2LB+12+3] offset:13824 // lwoB_0_0_3_0 = (0*LSCB)*(MT1J+PAD) + (3*LSPB) = 13824
v_mfma_f32_16x16x16_bf16 a[176+0:179+0], v[vgprValuB_X2_I0+14+0+0:vgprValuB_X2_I0+14+0+0+1], v[vgprValuA_X2_I0+4+0+0:vgprValuA_X2_I0+4+0+0+1], a[176:179]
/*  mfmaIndex:142  */
_buffer_load_b128 v[vgprG2LB+12:vgprG2LB+12+3], v[vgprGlobalReadOffsetB+0], s[sgprSrdB:sgprSrdB+3], s[sgprScalarGlobalReadOffsetB+2], offen offset:0 // G -> Reg 0_0_3_0
v_mfma_f32_16x16x16_bf16 a[172+0:175+0], v[vgprValuB_X2_I0+14+0+0:vgprValuB_X2_I0+14+0+0+1], v[vgprValuA_X2_I0+2+0+0:vgprValuA_X2_I0+2+0+0+1], a[172:175]
/*  mfmaIndex:143  */

/* local read swap offsets a */

/* local read swap offsets b */

/* local read init pointers a */

/* localReadInitPointers */

/* local read init pointers b */

/* localReadInitPointers */
v_mfma_f32_16x16x16_bf16 a[168+0:171+0], v[vgprValuB_X2_I0+14+0+0:vgprValuB_X2_I0+14+0+0+1], v[vgprValuA_X2_I0+0+0+0:vgprValuA_X2_I0+0+0+0+1], a[168:171]


/* iter 3 (swap and reset local write pointers iteration)  */

/*  grEndMfmaIndex:12, lwStartMfmaIndex:51, lwEndMfmaIndex:167  */
/*  numMfmaForLR:19, barrierMfmaIndex:172, LocalWritePerMfma:0.165 */
/*  mfmaIndex:144  */
v_mfma_f32_16x16x16_bf16 a[0+0:3+0], v[vgprValuB_X3_I0+0+0+0:vgprValuB_X3_I0+0+0+0+1], v[vgprValuA_X3_I0+0+0+0:vgprValuA_X3_I0+0+0+0+1], a[0:3]
/*  mfmaIndex:145  */
v_mfma_f32_16x16x16_bf16 a[4+0:7+0], v[vgprValuB_X3_I0+0+0+0:vgprValuB_X3_I0+0+0+0+1], v[vgprValuA_X3_I0+2+0+0:vgprValuA_X3_I0+2+0+0+1], a[4:7]
/*  mfmaIndex:146  */
v_mfma_f32_16x16x16_bf16 a[8+0:11+0], v[vgprValuB_X3_I0+0+0+0:vgprValuB_X3_I0+0+0+0+1], v[vgprValuA_X3_I0+4+0+0:vgprValuA_X3_I0+4+0+0+1], a[8:11]
/*  mfmaIndex:147  */
/* sched write - iter 3 writesPerItem=1 */
s_waitcnt vmcnt(0)                                 // lgkmcnt=-1 vmcnt=0wait for global read before writing to local
_ds_store_b128 v[vgprLocalWriteAddrB], v[vgprG2LB+16:vgprG2LB+16+3] offset:18432 // lwoB_0_0_4_0 = (0*LSCB)*(MT1J+PAD) + (4*LSPB) = 18432
v_mfma_f32_16x16x16_bf16 a[12+0:15+0], v[vgprValuB_X3_I0+0+0+0:vgprValuB_X3_I0+0+0+0+1], v[vgprValuA_X3_I0+6+0+0:vgprValuA_X3_I0+6+0+0+1], a[12:15]
/*  mfmaIndex:148  */
_buffer_load_b128 v[vgprG2LB+16:vgprG2LB+16+3], v[vgprGlobalReadOffsetB+0], s[sgprSrdB:sgprSrdB+3], s[sgprScalarGlobalReadOffsetB+3], offen offset:0 // G -> Reg 0_0_4_0
v_mfma_f32_16x16x16_bf16 a[16+0:19+0], v[vgprValuB_X3_I0+0+0+0:vgprValuB_X3_I0+0+0+0+1], v[vgprValuA_X3_I0+8+0+0:vgprValuA_X3_I0+8+0+0+1], a[16:19]
/*  mfmaIndex:149  */
v_mfma_f32_16x16x16_bf16 a[20+0:23+0], v[vgprValuB_X3_I0+0+0+0:vgprValuB_X3_I0+0+0+0+1], v[vgprValuA_X3_I0+10+0+0:vgprValuA_X3_I0+10+0+0+1], a[20:23]
/*  mfmaIndex:150  */
	;; [unrolled: 2-line block ×6, first 2 shown]
/* sched write - iter 3 writesPerItem=1 */
s_waitcnt vmcnt(0)                                 // lgkmcnt=-1 vmcnt=0wait for global read before writing to local
_ds_store_b128 v[vgprLocalWriteAddrB], v[vgprG2LB+20:vgprG2LB+20+3] offset:23040 // lwoB_0_0_5_0 = (0*LSCB)*(MT1J+PAD) + (5*LSPB) = 23040
v_mfma_f32_16x16x16_bf16 a[28+0:31+0], v[vgprValuB_X3_I0+2+0+0:vgprValuB_X3_I0+2+0+0+1], v[vgprValuA_X3_I0+2+0+0:vgprValuA_X3_I0+2+0+0+1], a[28:31]
/*  mfmaIndex:155  */
_buffer_load_b128 v[vgprG2LB+20:vgprG2LB+20+3], v[vgprGlobalReadOffsetB+0], s[sgprSrdB:sgprSrdB+3], s[sgprScalarGlobalReadOffsetB+4], offen offset:0 // G -> Reg 0_0_5_0
v_mfma_f32_16x16x16_bf16 a[24+0:27+0], v[vgprValuB_X3_I0+2+0+0:vgprValuB_X3_I0+2+0+0+1], v[vgprValuA_X3_I0+0+0+0:vgprValuA_X3_I0+0+0+0+1], a[24:27]
/*  mfmaIndex:156  */
v_mfma_f32_16x16x16_bf16 a[48+0:51+0], v[vgprValuB_X3_I0+4+0+0:vgprValuB_X3_I0+4+0+0+1], v[vgprValuA_X3_I0+0+0+0:vgprValuA_X3_I0+0+0+0+1], a[48:51]
/*  mfmaIndex:157  */
	;; [unrolled: 2-line block ×5, first 2 shown]
/* sched write - iter 3 writesPerItem=1 */
s_waitcnt vmcnt(0)                                 // lgkmcnt=-1 vmcnt=0wait for global read before writing to local
_ds_store_b128 v[vgprLocalWriteAddrB], v[vgprG2LB+24:vgprG2LB+24+3] offset:27648 // lwoB_0_0_6_0 = (0*LSCB)*(MT1J+PAD) + (6*LSPB) = 27648
v_mfma_f32_16x16x16_bf16 a[64+0:67+0], v[vgprValuB_X3_I0+4+0+0:vgprValuB_X3_I0+4+0+0+1], v[vgprValuA_X3_I0+8+0+0:vgprValuA_X3_I0+8+0+0+1], a[64:67]
/*  mfmaIndex:161  */
_buffer_load_b128 v[vgprG2LB+24:vgprG2LB+24+3], v[vgprGlobalReadOffsetB+0], s[sgprSrdB:sgprSrdB+3], s[sgprScalarGlobalReadOffsetB+5], offen offset:0 // G -> Reg 0_0_6_0
v_mfma_f32_16x16x16_bf16 a[68+0:71+0], v[vgprValuB_X3_I0+4+0+0:vgprValuB_X3_I0+4+0+0+1], v[vgprValuA_X3_I0+10+0+0:vgprValuA_X3_I0+10+0+0+1], a[68:71]
/*  mfmaIndex:162  */
v_mfma_f32_16x16x16_bf16 a[92+0:95+0], v[vgprValuB_X3_I0+6+0+0:vgprValuB_X3_I0+6+0+0+1], v[vgprValuA_X3_I0+10+0+0:vgprValuA_X3_I0+10+0+0+1], a[92:95]
/*  mfmaIndex:163  */
	;; [unrolled: 2-line block ×5, first 2 shown]
/* sched write - iter 3 writesPerItem=1 */
s_waitcnt vmcnt(0)                                 // lgkmcnt=-1 vmcnt=0wait for global read before writing to local
_ds_store_b128 v[vgprLocalWriteAddrB], v[vgprG2LB+28:vgprG2LB+28+3] offset:32256 // lwoB_0_0_7_0 = (0*LSCB)*(MT1J+PAD) + (7*LSPB) = 32256
v_mfma_f32_16x16x16_bf16 a[76+0:79+0], v[vgprValuB_X3_I0+6+0+0:vgprValuB_X3_I0+6+0+0+1], v[vgprValuA_X3_I0+2+0+0:vgprValuA_X3_I0+2+0+0+1], a[76:79]
/*  mfmaIndex:167  */
_buffer_load_b128 v[vgprG2LB+28:vgprG2LB+28+3], v[vgprGlobalReadOffsetB+0], s[sgprSrdB:sgprSrdB+3], s[sgprScalarGlobalReadOffsetB+6], offen offset:0 // G -> Reg 0_0_7_0

/* local write swap offsets a */

/* local write swap offsets b */
v_mfma_f32_16x16x16_bf16 a[72+0:75+0], v[vgprValuB_X3_I0+6+0+0:vgprValuB_X3_I0+6+0+0+1], v[vgprValuA_X3_I0+0+0+0:vgprValuA_X3_I0+0+0+0+1], a[72:75]
/*  mfmaIndex:168  */
v_mfma_f32_16x16x16_bf16 a[96+0:99+0], v[vgprValuB_X3_I0+8+0+0:vgprValuB_X3_I0+8+0+0+1], v[vgprValuA_X3_I0+0+0+0:vgprValuA_X3_I0+0+0+0+1], a[96:99]
/*  mfmaIndex:169  */
	;; [unrolled: 2-line block ×4, first 2 shown]
v_mfma_f32_16x16x16_bf16 a[108+0:111+0], v[vgprValuB_X3_I0+8+0+0:vgprValuB_X3_I0+8+0+0+1], v[vgprValuA_X3_I0+6+0+0:vgprValuA_X3_I0+6+0+0+1], a[108:111]
s_setprio 0                                        // store optimization
/*  mfmaIndex:172  */
s_waitcnt lgkmcnt(0)                               // lgkmcnt=0 vmcnt=-13wait for local write
// Skip force waitcnt0
s_barrier //
v_mfma_f32_16x16x16_bf16 a[112+0:115+0], v[vgprValuB_X3_I0+8+0+0:vgprValuB_X3_I0+8+0+0+1], v[vgprValuA_X3_I0+8+0+0:vgprValuA_X3_I0+8+0+0+1], a[112:115]
/*  mfmaIndex:173  */
s_setprio 3                                        // store optimization
_ds_load_b64 v[vgprValuA_X0_I0+0:vgprValuA_X0_I0+0+1], v[vgprLocalReadAddrA] offset:0 // L -> Reg lro=0 swapByteOffset=0 ti=32 vIdx=0 rIdx=0 oIdx=0 buffer=0 iui=0
v_mfma_f32_16x16x16_bf16 a[116+0:119+0], v[vgprValuB_X3_I0+8+0+0:vgprValuB_X3_I0+8+0+0+1], v[vgprValuA_X3_I0+10+0+0:vgprValuA_X3_I0+10+0+0+1], a[116:119]
/*  mfmaIndex:174  */
_ds_load_b64 v[vgprValuB_X0_I0+0:vgprValuB_X0_I0+0+1], v[vgprLocalReadAddrB] offset:0 // L -> Reg lro=0 swapByteOffset=0 ti=32 vIdx=0 rIdx=0 oIdx=0 buffer=0 iui=0
v_mfma_f32_16x16x16_bf16 a[140+0:143+0], v[vgprValuB_X3_I0+10+0+0:vgprValuB_X3_I0+10+0+0+1], v[vgprValuA_X3_I0+10+0+0:vgprValuA_X3_I0+10+0+0+1], a[140:143]
/*  mfmaIndex:175  */
_ds_load_b64 v[vgprValuA_X0_I0+2:vgprValuA_X0_I0+2+1], v[vgprLocalReadAddrA] offset:4352 // L -> Reg lro=0 swapByteOffset=0 ti=32 vIdx=1 rIdx=0 oIdx=0 buffer=0 iui=0
v_mfma_f32_16x16x16_bf16 a[136+0:139+0], v[vgprValuB_X3_I0+10+0+0:vgprValuB_X3_I0+10+0+0+1], v[vgprValuA_X3_I0+8+0+0:vgprValuA_X3_I0+8+0+0+1], a[136:139]
/*  mfmaIndex:176  */
_ds_load_b64 v[vgprValuA_X0_I0+4:vgprValuA_X0_I0+4+1], v[vgprLocalReadAddrA] offset:8704 // L -> Reg lro=0 swapByteOffset=0 ti=32 vIdx=2 rIdx=0 oIdx=0 buffer=0 iui=0
	;; [unrolled: 3-line block ×5, first 2 shown]
v_mfma_f32_16x16x16_bf16 a[120+0:123+0], v[vgprValuB_X3_I0+10+0+0:vgprValuB_X3_I0+10+0+0+1], v[vgprValuA_X3_I0+0+0+0:vgprValuA_X3_I0+0+0+0+1], a[120:123]
/*  mfmaIndex:180  */
_ds_load_b64 v[vgprValuB_X0_I0+2:vgprValuB_X0_I0+2+1], v[vgprLocalReadAddrB] offset:4608 // L -> Reg lro=0 swapByteOffset=0 ti=32 vIdx=1 rIdx=0 oIdx=0 buffer=0 iui=0
v_mfma_f32_16x16x16_bf16 a[144+0:147+0], v[vgprValuB_X3_I0+12+0+0:vgprValuB_X3_I0+12+0+0+1], v[vgprValuA_X3_I0+0+0+0:vgprValuA_X3_I0+0+0+0+1], a[144:147]
/*  mfmaIndex:181  */
_ds_load_b64 v[vgprValuB_X0_I0+4:vgprValuB_X0_I0+4+1], v[vgprLocalReadAddrB] offset:9216 // L -> Reg lro=0 swapByteOffset=0 ti=32 vIdx=2 rIdx=0 oIdx=0 buffer=0 iui=0
	;; [unrolled: 3-line block ×7, first 2 shown]
v_mfma_f32_16x16x16_bf16 a[188+0:191+0], v[vgprValuB_X3_I0+14+0+0:vgprValuB_X3_I0+14+0+0+1], v[vgprValuA_X3_I0+10+0+0:vgprValuA_X3_I0+10+0+0+1], a[188:191]
/*  mfmaIndex:187  */
v_mfma_f32_16x16x16_bf16 a[184+0:187+0], v[vgprValuB_X3_I0+14+0+0:vgprValuB_X3_I0+14+0+0+1], v[vgprValuA_X3_I0+8+0+0:vgprValuA_X3_I0+8+0+0+1], a[184:187]
/*  mfmaIndex:188  */
	;; [unrolled: 2-line block ×5, first 2 shown]
v_mfma_f32_16x16x16_bf16 a[168+0:171+0], v[vgprValuB_X3_I0+14+0+0:vgprValuB_X3_I0+14+0+0+1], v[vgprValuA_X3_I0+0+0+0:vgprValuA_X3_I0+0+0+0+1], a[168:171]
s_setprio 0                                        // store optimization


/******************************************/
/* Unrolled Loop - End 2/2 (final)        */
/******************************************/


/* closeLoop loopL finalLoop=1 tailLoop=0 */
s_sub_u32 s[sgprLoopCounterL], s[sgprLoopCounterL], 1 // dec counterL
s_cmp_eq_i32 s[sgprLoopCounterL], 0x2              // counterL==2
s_cbranch_scc0 LoopBeginL_1                        // restart LoopL
LoopEndL_evenexit_4: // unroll loop eveniter exit
s_branch LoopEndL_2                                // exit unroll loopL (and skip second exit code)
LoopEndL_oddexit_3: // unroll loop odditer exit

/* Select high bank of LDS */
LoopEndL_2:


/* Before NLL: Check VGPR.checkin for INT8 LW */


/******************************************/
/* Ord. NoGlobalLoadLoop - Begin                                      */
/******************************************/


	;; [unrolled: 1-line block ×3, first 2 shown]
/* iter 0 */

/*  grEndMfmaIndex:12, lwStartMfmaIndex:51, lwEndMfmaIndex:167  */
/*  numMfmaForLR:19, barrierMfmaIndex:172, LocalWritePerMfma:0.165 */
/*  mfmaIndex:0  */
s_waitcnt lgkmcnt(0)                               // lgkmcnt=0 vmcnt=-1wait for prior local read local write old=0, new=0 newLW=0 newLR=0
v_mfma_f32_16x16x16_bf16 a[0+0:3+0], v[vgprValuB_X0_I0+0+0+0:vgprValuB_X0_I0+0+0+0+1], v[vgprValuA_X0_I0+0+0+0:vgprValuA_X0_I0+0+0+0+1], a[0:3]
/*  mfmaIndex:1  */
_ds_load_b64 v[vgprValuA_X1_I0+0:vgprValuA_X1_I0+0+1], v[vgprLocalReadAddrA] offset:32 // L -> Reg lro=16 swapByteOffset=0 ti=32 vIdx=0 rIdx=0 oIdx=0 buffer=1 iui=0

/* global read inc A loopL */
s_add_u32 s[sgprSrdA+0], s[sgprSrdA+0], s[sgprGlobalReadIncsA+0] // gra SRD += inc(lower)
v_mfma_f32_16x16x16_bf16 a[4+0:7+0], v[vgprValuB_X0_I0+0+0+0:vgprValuB_X0_I0+0+0+0+1], v[vgprValuA_X0_I0+2+0+0:vgprValuA_X0_I0+2+0+0+1], a[4:7]
/*  mfmaIndex:2  */
_ds_load_b64 v[vgprValuB_X1_I0+0:vgprValuB_X1_I0+0+1], v[vgprLocalReadAddrB] offset:32 // L -> Reg lro=16 swapByteOffset=0 ti=32 vIdx=0 rIdx=0 oIdx=0 buffer=1 iui=0
s_addc_u32  s[sgprSrdA+1], s[sgprSrdA+1], 0        // gra SRD += inc(upper)
v_mfma_f32_16x16x16_bf16 a[8+0:11+0], v[vgprValuB_X0_I0+0+0+0:vgprValuB_X0_I0+0+0+0+1], v[vgprValuA_X0_I0+4+0+0:vgprValuA_X0_I0+4+0+0+1], a[8:11]
/*  mfmaIndex:3  */
_ds_load_b64 v[vgprValuA_X1_I0+2:vgprValuA_X1_I0+2+1], v[vgprLocalReadAddrA] offset:4384 // L -> Reg lro=16 swapByteOffset=0 ti=32 vIdx=1 rIdx=0 oIdx=0 buffer=1 iui=0
s_sub_u32 s[sgprShadowLimitA+0], s[sgprShadowLimitA+0], s[sgprGlobalReadIncsA+0] // limit -= inc)
v_mfma_f32_16x16x16_bf16 a[12+0:15+0], v[vgprValuB_X0_I0+0+0+0:vgprValuB_X0_I0+0+0+0+1], v[vgprValuA_X0_I0+6+0+0:vgprValuA_X0_I0+6+0+0+1], a[12:15]
/*  mfmaIndex:4  */
_ds_load_b64 v[vgprValuA_X1_I0+4:vgprValuA_X1_I0+4+1], v[vgprLocalReadAddrA] offset:8736 // L -> Reg lro=16 swapByteOffset=0 ti=32 vIdx=2 rIdx=0 oIdx=0 buffer=1 iui=0
s_subb_u32 s[sgprShadowLimitA+1], s[sgprShadowLimitA+1], 0 // limit -= inc)
v_mfma_f32_16x16x16_bf16 a[16+0:19+0], v[vgprValuB_X0_I0+0+0+0:vgprValuB_X0_I0+0+0+0+1], v[vgprValuA_X0_I0+8+0+0:vgprValuA_X0_I0+8+0+0+1], a[16:19]
/*  mfmaIndex:5  */
_ds_load_b64 v[vgprValuA_X1_I0+6:vgprValuA_X1_I0+6+1], v[vgprLocalReadAddrA] offset:13088 // L -> Reg lro=16 swapByteOffset=0 ti=32 vIdx=3 rIdx=0 oIdx=0 buffer=1 iui=0
s_cmp_eq_u32 s[sgprShadowLimitA+1], 0              // are we within 2^32?
v_mfma_f32_16x16x16_bf16 a[20+0:23+0], v[vgprValuB_X0_I0+0+0+0:vgprValuB_X0_I0+0+0+0+1], v[vgprValuA_X0_I0+10+0+0:vgprValuA_X0_I0+10+0+0+1], a[20:23]
/*  mfmaIndex:6  */
_ds_load_b64 v[vgprValuA_X1_I0+8:vgprValuA_X1_I0+8+1], v[vgprLocalReadAddrA] offset:17440 // L -> Reg lro=16 swapByteOffset=0 ti=32 vIdx=4 rIdx=0 oIdx=0 buffer=1 iui=0
s_cmov_b32 s[sgprSrdA+2], s[sgprShadowLimitA+0]    // Move shadow to real if we are within 2^32
v_mfma_f32_16x16x16_bf16 a[44+0:47+0], v[vgprValuB_X0_I0+2+0+0:vgprValuB_X0_I0+2+0+0+1], v[vgprValuA_X0_I0+10+0+0:vgprValuA_X0_I0+10+0+0+1], a[44:47]
/*  mfmaIndex:7  */
_ds_load_b64 v[vgprValuA_X1_I0+10:vgprValuA_X1_I0+10+1], v[vgprLocalReadAddrA] offset:21792 // L -> Reg lro=16 swapByteOffset=0 ti=32 vIdx=5 rIdx=0 oIdx=0 buffer=1 iui=0

/* global read inc B loopL */
s_add_u32 s[sgprSrdB+0], s[sgprSrdB+0], s[sgprGlobalReadIncsB+0] // gra SRD += inc(lower)
v_mfma_f32_16x16x16_bf16 a[40+0:43+0], v[vgprValuB_X0_I0+2+0+0:vgprValuB_X0_I0+2+0+0+1], v[vgprValuA_X0_I0+8+0+0:vgprValuA_X0_I0+8+0+0+1], a[40:43]
/*  mfmaIndex:8  */
_ds_load_b64 v[vgprValuB_X1_I0+2:vgprValuB_X1_I0+2+1], v[vgprLocalReadAddrB] offset:4640 // L -> Reg lro=16 swapByteOffset=0 ti=32 vIdx=1 rIdx=0 oIdx=0 buffer=1 iui=0
s_addc_u32  s[sgprSrdB+1], s[sgprSrdB+1], 0        // gra SRD += inc(upper)
v_mfma_f32_16x16x16_bf16 a[36+0:39+0], v[vgprValuB_X0_I0+2+0+0:vgprValuB_X0_I0+2+0+0+1], v[vgprValuA_X0_I0+6+0+0:vgprValuA_X0_I0+6+0+0+1], a[36:39]
/*  mfmaIndex:9  */
_ds_load_b64 v[vgprValuB_X1_I0+4:vgprValuB_X1_I0+4+1], v[vgprLocalReadAddrB] offset:9248 // L -> Reg lro=16 swapByteOffset=0 ti=32 vIdx=2 rIdx=0 oIdx=0 buffer=1 iui=0
s_sub_u32 s[sgprShadowLimitB+0], s[sgprShadowLimitB+0], s[sgprGlobalReadIncsB+0] // limit -= inc)
v_mfma_f32_16x16x16_bf16 a[32+0:35+0], v[vgprValuB_X0_I0+2+0+0:vgprValuB_X0_I0+2+0+0+1], v[vgprValuA_X0_I0+4+0+0:vgprValuA_X0_I0+4+0+0+1], a[32:35]
/*  mfmaIndex:10  */
_ds_load_b64 v[vgprValuB_X1_I0+6:vgprValuB_X1_I0+6+1], v[vgprLocalReadAddrB] offset:13856 // L -> Reg lro=16 swapByteOffset=0 ti=32 vIdx=3 rIdx=0 oIdx=0 buffer=1 iui=0
s_subb_u32 s[sgprShadowLimitB+1], s[sgprShadowLimitB+1], 0 // limit -= inc)
v_mfma_f32_16x16x16_bf16 a[28+0:31+0], v[vgprValuB_X0_I0+2+0+0:vgprValuB_X0_I0+2+0+0+1], v[vgprValuA_X0_I0+2+0+0:vgprValuA_X0_I0+2+0+0+1], a[28:31]
/*  mfmaIndex:11  */
_ds_load_b64 v[vgprValuB_X1_I0+8:vgprValuB_X1_I0+8+1], v[vgprLocalReadAddrB] offset:18464 // L -> Reg lro=16 swapByteOffset=0 ti=32 vIdx=4 rIdx=0 oIdx=0 buffer=1 iui=0
s_cmp_eq_u32 s[sgprShadowLimitB+1], 0              // are we within 2^32?
v_mfma_f32_16x16x16_bf16 a[24+0:27+0], v[vgprValuB_X0_I0+2+0+0:vgprValuB_X0_I0+2+0+0+1], v[vgprValuA_X0_I0+0+0+0:vgprValuA_X0_I0+0+0+0+1], a[24:27]
/*  mfmaIndex:12  */
_ds_load_b64 v[vgprValuB_X1_I0+10:vgprValuB_X1_I0+10+1], v[vgprLocalReadAddrB] offset:23072 // L -> Reg lro=16 swapByteOffset=0 ti=32 vIdx=5 rIdx=0 oIdx=0 buffer=1 iui=0
s_cmov_b32 s[sgprSrdB+2], s[sgprShadowLimitB+0]    // Move shadow to real if we are within 2^32
v_mfma_f32_16x16x16_bf16 a[48+0:51+0], v[vgprValuB_X0_I0+4+0+0:vgprValuB_X0_I0+4+0+0+1], v[vgprValuA_X0_I0+0+0+0:vgprValuA_X0_I0+0+0+0+1], a[48:51]
/*  mfmaIndex:13  */
_ds_load_b64 v[vgprValuB_X1_I0+12:vgprValuB_X1_I0+12+1], v[vgprLocalReadAddrB] offset:27680 // L -> Reg lro=16 swapByteOffset=0 ti=32 vIdx=6 rIdx=0 oIdx=0 buffer=1 iui=0
v_mfma_f32_16x16x16_bf16 a[52+0:55+0], v[vgprValuB_X0_I0+4+0+0:vgprValuB_X0_I0+4+0+0+1], v[vgprValuA_X0_I0+2+0+0:vgprValuA_X0_I0+2+0+0+1], a[52:55]
/*  mfmaIndex:14  */
_ds_load_b64 v[vgprValuB_X1_I0+14:vgprValuB_X1_I0+14+1], v[vgprLocalReadAddrB] offset:32288 // L -> Reg lro=16 swapByteOffset=0 ti=32 vIdx=7 rIdx=0 oIdx=0 buffer=1 iui=0
v_mfma_f32_16x16x16_bf16 a[56+0:59+0], v[vgprValuB_X0_I0+4+0+0:vgprValuB_X0_I0+4+0+0+1], v[vgprValuA_X0_I0+4+0+0:vgprValuA_X0_I0+4+0+0+1], a[56:59]
/*  mfmaIndex:15  */
/* localReadsVacancy: latencyLeft 2 */
_ds_load_b64 v[vgprValuA_X2_I0+0:vgprValuA_X2_I0+0+1], v[vgprLocalReadAddrA] offset:64 // L -> Reg lro=32 swapByteOffset=0 ti=32 vIdx=0 rIdx=0 oIdx=0 buffer=2 iui=0
v_mfma_f32_16x16x16_bf16 a[60+0:63+0], v[vgprValuB_X0_I0+4+0+0:vgprValuB_X0_I0+4+0+0+1], v[vgprValuA_X0_I0+6+0+0:vgprValuA_X0_I0+6+0+0+1], a[60:63]
/*  mfmaIndex:16  */
/* localReadsVacancy: latencyLeft 2 */
_ds_load_b64 v[vgprValuB_X2_I0+0:vgprValuB_X2_I0+0+1], v[vgprLocalReadAddrB] offset:64 // L -> Reg lro=32 swapByteOffset=0 ti=32 vIdx=0 rIdx=0 oIdx=0 buffer=2 iui=0
v_mfma_f32_16x16x16_bf16 a[64+0:67+0], v[vgprValuB_X0_I0+4+0+0:vgprValuB_X0_I0+4+0+0+1], v[vgprValuA_X0_I0+8+0+0:vgprValuA_X0_I0+8+0+0+1], a[64:67]
/*  mfmaIndex:17  */
/* localReadsVacancy: latencyLeft 2 */
_ds_load_b64 v[vgprValuA_X2_I0+2:vgprValuA_X2_I0+2+1], v[vgprLocalReadAddrA] offset:4416 // L -> Reg lro=32 swapByteOffset=0 ti=32 vIdx=1 rIdx=0 oIdx=0 buffer=2 iui=0
v_mfma_f32_16x16x16_bf16 a[68+0:71+0], v[vgprValuB_X0_I0+4+0+0:vgprValuB_X0_I0+4+0+0+1], v[vgprValuA_X0_I0+10+0+0:vgprValuA_X0_I0+10+0+0+1], a[68:71]
/*  mfmaIndex:18  */
/* localReadsVacancy: latencyLeft 2 */
_ds_load_b64 v[vgprValuA_X2_I0+4:vgprValuA_X2_I0+4+1], v[vgprLocalReadAddrA] offset:8768 // L -> Reg lro=32 swapByteOffset=0 ti=32 vIdx=2 rIdx=0 oIdx=0 buffer=2 iui=0
	;; [unrolled: 4-line block ×5, first 2 shown]
v_mfma_f32_16x16x16_bf16 a[80+0:83+0], v[vgprValuB_X0_I0+6+0+0:vgprValuB_X0_I0+6+0+0+1], v[vgprValuA_X0_I0+4+0+0:vgprValuA_X0_I0+4+0+0+1], a[80:83]
/*  mfmaIndex:22  */
/* localReadsVacancy: latencyLeft 2 */
_ds_load_b64 v[vgprValuB_X2_I0+2:vgprValuB_X2_I0+2+1], v[vgprLocalReadAddrB] offset:4672 // L -> Reg lro=32 swapByteOffset=0 ti=32 vIdx=1 rIdx=0 oIdx=0 buffer=2 iui=0
v_mfma_f32_16x16x16_bf16 a[76+0:79+0], v[vgprValuB_X0_I0+6+0+0:vgprValuB_X0_I0+6+0+0+1], v[vgprValuA_X0_I0+2+0+0:vgprValuA_X0_I0+2+0+0+1], a[76:79]
/*  mfmaIndex:23  */
/* localReadsVacancy: latencyLeft 2 */
_ds_load_b64 v[vgprValuB_X2_I0+4:vgprValuB_X2_I0+4+1], v[vgprLocalReadAddrB] offset:9280 // L -> Reg lro=32 swapByteOffset=0 ti=32 vIdx=2 rIdx=0 oIdx=0 buffer=2 iui=0
	;; [unrolled: 4-line block ×7, first 2 shown]
v_mfma_f32_16x16x16_bf16 a[112+0:115+0], v[vgprValuB_X0_I0+8+0+0:vgprValuB_X0_I0+8+0+0+1], v[vgprValuA_X0_I0+8+0+0:vgprValuA_X0_I0+8+0+0+1], a[112:115]
/*  mfmaIndex:29  */
/* localReadsVacancy: latencyLeft 2 */
_ds_load_b64 v[vgprValuA_X3_I0+0:vgprValuA_X3_I0+0+1], v[vgprLocalReadAddrA] offset:96 // L -> Reg lro=48 swapByteOffset=0 ti=32 vIdx=0 rIdx=0 oIdx=0 buffer=3 iui=0
v_mfma_f32_16x16x16_bf16 a[116+0:119+0], v[vgprValuB_X0_I0+8+0+0:vgprValuB_X0_I0+8+0+0+1], v[vgprValuA_X0_I0+10+0+0:vgprValuA_X0_I0+10+0+0+1], a[116:119]
/*  mfmaIndex:30  */
/* localReadsVacancy: latencyLeft 2 */
_ds_load_b64 v[vgprValuB_X3_I0+0:vgprValuB_X3_I0+0+1], v[vgprLocalReadAddrB] offset:96 // L -> Reg lro=48 swapByteOffset=0 ti=32 vIdx=0 rIdx=0 oIdx=0 buffer=3 iui=0
v_mfma_f32_16x16x16_bf16 a[140+0:143+0], v[vgprValuB_X0_I0+10+0+0:vgprValuB_X0_I0+10+0+0+1], v[vgprValuA_X0_I0+10+0+0:vgprValuA_X0_I0+10+0+0+1], a[140:143]
/*  mfmaIndex:31  */
/* localReadsVacancy: latencyLeft 2 */
_ds_load_b64 v[vgprValuA_X3_I0+2:vgprValuA_X3_I0+2+1], v[vgprLocalReadAddrA] offset:4448 // L -> Reg lro=48 swapByteOffset=0 ti=32 vIdx=1 rIdx=0 oIdx=0 buffer=3 iui=0
v_mfma_f32_16x16x16_bf16 a[136+0:139+0], v[vgprValuB_X0_I0+10+0+0:vgprValuB_X0_I0+10+0+0+1], v[vgprValuA_X0_I0+8+0+0:vgprValuA_X0_I0+8+0+0+1], a[136:139]
/*  mfmaIndex:32  */
/* localReadsVacancy: latencyLeft 2 */
_ds_load_b64 v[vgprValuA_X3_I0+4:vgprValuA_X3_I0+4+1], v[vgprLocalReadAddrA] offset:8800 // L -> Reg lro=48 swapByteOffset=0 ti=32 vIdx=2 rIdx=0 oIdx=0 buffer=3 iui=0
	;; [unrolled: 4-line block ×5, first 2 shown]
v_mfma_f32_16x16x16_bf16 a[120+0:123+0], v[vgprValuB_X0_I0+10+0+0:vgprValuB_X0_I0+10+0+0+1], v[vgprValuA_X0_I0+0+0+0:vgprValuA_X0_I0+0+0+0+1], a[120:123]
/*  mfmaIndex:36  */
/* localReadsVacancy: latencyLeft 2 */
_ds_load_b64 v[vgprValuB_X3_I0+2:vgprValuB_X3_I0+2+1], v[vgprLocalReadAddrB] offset:4704 // L -> Reg lro=48 swapByteOffset=0 ti=32 vIdx=1 rIdx=0 oIdx=0 buffer=3 iui=0
v_mfma_f32_16x16x16_bf16 a[144+0:147+0], v[vgprValuB_X0_I0+12+0+0:vgprValuB_X0_I0+12+0+0+1], v[vgprValuA_X0_I0+0+0+0:vgprValuA_X0_I0+0+0+0+1], a[144:147]
/*  mfmaIndex:37  */
/* localReadsVacancy: latencyLeft 2 */
_ds_load_b64 v[vgprValuB_X3_I0+4:vgprValuB_X3_I0+4+1], v[vgprLocalReadAddrB] offset:9312 // L -> Reg lro=48 swapByteOffset=0 ti=32 vIdx=2 rIdx=0 oIdx=0 buffer=3 iui=0
	;; [unrolled: 4-line block ×7, first 2 shown]
v_mfma_f32_16x16x16_bf16 a[188+0:191+0], v[vgprValuB_X0_I0+14+0+0:vgprValuB_X0_I0+14+0+0+1], v[vgprValuA_X0_I0+10+0+0:vgprValuA_X0_I0+10+0+0+1], a[188:191]
/*  mfmaIndex:43  */
/* localReadsVacancy: latencyLeft 2 */
v_mfma_f32_16x16x16_bf16 a[184+0:187+0], v[vgprValuB_X0_I0+14+0+0:vgprValuB_X0_I0+14+0+0+1], v[vgprValuA_X0_I0+8+0+0:vgprValuA_X0_I0+8+0+0+1], a[184:187]
/*  mfmaIndex:44  */
/* localReadsVacancy: latencyLeft 2 */
	;; [unrolled: 3-line block ×5, first 2 shown]
v_mfma_f32_16x16x16_bf16 a[168+0:171+0], v[vgprValuB_X0_I0+14+0+0:vgprValuB_X0_I0+14+0+0+1], v[vgprValuA_X0_I0+0+0+0:vgprValuA_X0_I0+0+0+0+1], a[168:171]
/* numPrefetchIter=0 */
/* dataAtIterA=-1 numReadsIterA=1 skipReadsIterA=1 readsPerIterA=6 */
/* dataAtIterB=-1 numReadsIterB=1 skipReadsIterB=1 readsPerIterB=8 */


/* iter 1 */

/*  grEndMfmaIndex:12, lwStartMfmaIndex:51, lwEndMfmaIndex:167  */
/*  numMfmaForLR:19, barrierMfmaIndex:172, LocalWritePerMfma:0.165 */
/*  mfmaIndex:48  */
/* localReadsVacancy: latencyLeft 2 */
s_waitcnt lgkmcnt(15)                              // lgkmcnt=0 vmcnt=-1wait for prior local read local write old=14, new=14 newLW=0 newLR=0
v_mfma_f32_16x16x16_bf16 a[0+0:3+0], v[vgprValuB_X1_I0+0+0+0:vgprValuB_X1_I0+0+0+0+1], v[vgprValuA_X1_I0+0+0+0:vgprValuA_X1_I0+0+0+0+1], a[0:3]
/*  mfmaIndex:49  */
/* localReadsVacancy: latencyLeft 2 */
v_mfma_f32_16x16x16_bf16 a[4+0:7+0], v[vgprValuB_X1_I0+0+0+0:vgprValuB_X1_I0+0+0+0+1], v[vgprValuA_X1_I0+2+0+0:vgprValuA_X1_I0+2+0+0+1], a[4:7]
/*  mfmaIndex:50  */
/* localReadsVacancy: latencyLeft 2 */
/* 1 LDS buffer: read-sync-write */
s_waitcnt lgkmcnt(0)                               // 
s_barrier                                          // 
v_mfma_f32_16x16x16_bf16 a[8+0:11+0], v[vgprValuB_X1_I0+0+0+0:vgprValuB_X1_I0+0+0+0+1], v[vgprValuA_X1_I0+4+0+0:vgprValuA_X1_I0+4+0+0+1], a[8:11]
/*  mfmaIndex:51  */
s_setprio 3                                        // store optimization
/* sched write - iter 1 writesPerItem=1 */
s_waitcnt vmcnt(0)                                 // lgkmcnt=-1 vmcnt=0wait for global read before writing to local
_ds_store_b64 v[vgprLocalWriteAddrA], v[vgprG2LA+0:vgprG2LA+0+1] offset:0 // lwoA_0_0_0_0 = (0*LSCA)*(MT0I+PAD) + (0*LSPA) = 0
v_mfma_f32_16x16x16_bf16 a[12+0:15+0], v[vgprValuB_X1_I0+0+0+0:vgprValuB_X1_I0+0+0+0+1], v[vgprValuA_X1_I0+6+0+0:vgprValuA_X1_I0+6+0+0+1], a[12:15]
/*  mfmaIndex:52  */
v_mfma_f32_16x16x16_bf16 a[16+0:19+0], v[vgprValuB_X1_I0+0+0+0:vgprValuB_X1_I0+0+0+0+1], v[vgprValuA_X1_I0+8+0+0:vgprValuA_X1_I0+8+0+0+1], a[16:19]
/*  mfmaIndex:53  */
v_mfma_f32_16x16x16_bf16 a[20+0:23+0], v[vgprValuB_X1_I0+0+0+0:vgprValuB_X1_I0+0+0+0+1], v[vgprValuA_X1_I0+10+0+0:vgprValuA_X1_I0+10+0+0+1], a[20:23]
/*  mfmaIndex:54  */
v_mfma_f32_16x16x16_bf16 a[44+0:47+0], v[vgprValuB_X1_I0+2+0+0:vgprValuB_X1_I0+2+0+0+1], v[vgprValuA_X1_I0+10+0+0:vgprValuA_X1_I0+10+0+0+1], a[44:47]
/*  mfmaIndex:55  */
v_mfma_f32_16x16x16_bf16 a[40+0:43+0], v[vgprValuB_X1_I0+2+0+0:vgprValuB_X1_I0+2+0+0+1], v[vgprValuA_X1_I0+8+0+0:vgprValuA_X1_I0+8+0+0+1], a[40:43]
/*  mfmaIndex:56  */
v_mfma_f32_16x16x16_bf16 a[36+0:39+0], v[vgprValuB_X1_I0+2+0+0:vgprValuB_X1_I0+2+0+0+1], v[vgprValuA_X1_I0+6+0+0:vgprValuA_X1_I0+6+0+0+1], a[36:39]
/*  mfmaIndex:57  */
/* sched write - iter 1 writesPerItem=1 */
s_waitcnt vmcnt(0)                                 // lgkmcnt=-1 vmcnt=0wait for global read before writing to local
_ds_store_b64 v[vgprLocalWriteAddrA], v[vgprG2LA+2:vgprG2LA+2+1] offset:2176 // lwoA_0_0_1_0 = (0*LSCA)*(MT0I+PAD) + (1*LSPA) = 2176
v_mfma_f32_16x16x16_bf16 a[32+0:35+0], v[vgprValuB_X1_I0+2+0+0:vgprValuB_X1_I0+2+0+0+1], v[vgprValuA_X1_I0+4+0+0:vgprValuA_X1_I0+4+0+0+1], a[32:35]
/*  mfmaIndex:58  */
v_mfma_f32_16x16x16_bf16 a[28+0:31+0], v[vgprValuB_X1_I0+2+0+0:vgprValuB_X1_I0+2+0+0+1], v[vgprValuA_X1_I0+2+0+0:vgprValuA_X1_I0+2+0+0+1], a[28:31]
/*  mfmaIndex:59  */
	;; [unrolled: 2-line block ×6, first 2 shown]
/* sched write - iter 1 writesPerItem=1 */
s_waitcnt vmcnt(0)                                 // lgkmcnt=-1 vmcnt=0wait for global read before writing to local
_ds_store_b64 v[vgprLocalWriteAddrA], v[vgprG2LA+4:vgprG2LA+4+1] offset:4352 // lwoA_0_0_2_0 = (0*LSCA)*(MT0I+PAD) + (2*LSPA) = 4352
v_mfma_f32_16x16x16_bf16 a[60+0:63+0], v[vgprValuB_X1_I0+4+0+0:vgprValuB_X1_I0+4+0+0+1], v[vgprValuA_X1_I0+6+0+0:vgprValuA_X1_I0+6+0+0+1], a[60:63]
/*  mfmaIndex:64  */
v_mfma_f32_16x16x16_bf16 a[64+0:67+0], v[vgprValuB_X1_I0+4+0+0:vgprValuB_X1_I0+4+0+0+1], v[vgprValuA_X1_I0+8+0+0:vgprValuA_X1_I0+8+0+0+1], a[64:67]
/*  mfmaIndex:65  */
	;; [unrolled: 2-line block ×6, first 2 shown]
/* sched write - iter 1 writesPerItem=1 */
s_waitcnt vmcnt(0)                                 // lgkmcnt=-1 vmcnt=0wait for global read before writing to local
_ds_store_b64 v[vgprLocalWriteAddrA], v[vgprG2LA+6:vgprG2LA+6+1] offset:6528 // lwoA_0_0_3_0 = (0*LSCA)*(MT0I+PAD) + (3*LSPA) = 6528
v_mfma_f32_16x16x16_bf16 a[80+0:83+0], v[vgprValuB_X1_I0+6+0+0:vgprValuB_X1_I0+6+0+0+1], v[vgprValuA_X1_I0+4+0+0:vgprValuA_X1_I0+4+0+0+1], a[80:83]
/*  mfmaIndex:70  */
v_mfma_f32_16x16x16_bf16 a[76+0:79+0], v[vgprValuB_X1_I0+6+0+0:vgprValuB_X1_I0+6+0+0+1], v[vgprValuA_X1_I0+2+0+0:vgprValuA_X1_I0+2+0+0+1], a[76:79]
/*  mfmaIndex:71  */
v_mfma_f32_16x16x16_bf16 a[72+0:75+0], v[vgprValuB_X1_I0+6+0+0:vgprValuB_X1_I0+6+0+0+1], v[vgprValuA_X1_I0+0+0+0:vgprValuA_X1_I0+0+0+0+1], a[72:75]
/*  mfmaIndex:72  */
v_mfma_f32_16x16x16_bf16 a[96+0:99+0], v[vgprValuB_X1_I0+8+0+0:vgprValuB_X1_I0+8+0+0+1], v[vgprValuA_X1_I0+0+0+0:vgprValuA_X1_I0+0+0+0+1], a[96:99]
/*  mfmaIndex:73  */
v_mfma_f32_16x16x16_bf16 a[100+0:103+0], v[vgprValuB_X1_I0+8+0+0:vgprValuB_X1_I0+8+0+0+1], v[vgprValuA_X1_I0+2+0+0:vgprValuA_X1_I0+2+0+0+1], a[100:103]
/*  mfmaIndex:74  */
v_mfma_f32_16x16x16_bf16 a[104+0:107+0], v[vgprValuB_X1_I0+8+0+0:vgprValuB_X1_I0+8+0+0+1], v[vgprValuA_X1_I0+4+0+0:vgprValuA_X1_I0+4+0+0+1], a[104:107]
/*  mfmaIndex:75  */
/* sched write - iter 1 writesPerItem=1 */
s_waitcnt vmcnt(0)                                 // lgkmcnt=-1 vmcnt=0wait for global read before writing to local
_ds_store_b64 v[vgprLocalWriteAddrA], v[vgprG2LA+8:vgprG2LA+8+1] offset:8704 // lwoA_0_0_4_0 = (0*LSCA)*(MT0I+PAD) + (4*LSPA) = 8704
v_mfma_f32_16x16x16_bf16 a[108+0:111+0], v[vgprValuB_X1_I0+8+0+0:vgprValuB_X1_I0+8+0+0+1], v[vgprValuA_X1_I0+6+0+0:vgprValuA_X1_I0+6+0+0+1], a[108:111]
/*  mfmaIndex:76  */
v_mfma_f32_16x16x16_bf16 a[112+0:115+0], v[vgprValuB_X1_I0+8+0+0:vgprValuB_X1_I0+8+0+0+1], v[vgprValuA_X1_I0+8+0+0:vgprValuA_X1_I0+8+0+0+1], a[112:115]
/*  mfmaIndex:77  */
	;; [unrolled: 2-line block ×6, first 2 shown]
/* sched write - iter 1 writesPerItem=1 */
s_waitcnt vmcnt(0)                                 // lgkmcnt=-1 vmcnt=0wait for global read before writing to local
_ds_store_b64 v[vgprLocalWriteAddrA], v[vgprG2LA+10:vgprG2LA+10+1] offset:10880 // lwoA_0_0_5_0 = (0*LSCA)*(MT0I+PAD) + (5*LSPA) = 10880
v_mfma_f32_16x16x16_bf16 a[128+0:131+0], v[vgprValuB_X1_I0+10+0+0:vgprValuB_X1_I0+10+0+0+1], v[vgprValuA_X1_I0+4+0+0:vgprValuA_X1_I0+4+0+0+1], a[128:131]
/*  mfmaIndex:82  */
v_mfma_f32_16x16x16_bf16 a[124+0:127+0], v[vgprValuB_X1_I0+10+0+0:vgprValuB_X1_I0+10+0+0+1], v[vgprValuA_X1_I0+2+0+0:vgprValuA_X1_I0+2+0+0+1], a[124:127]
/*  mfmaIndex:83  */
	;; [unrolled: 2-line block ×6, first 2 shown]
/* sched write - iter 1 writesPerItem=1 */
s_waitcnt vmcnt(0)                                 // lgkmcnt=-1 vmcnt=0wait for global read before writing to local
_ds_store_b64 v[vgprLocalWriteAddrA], v[vgprG2LA+12:vgprG2LA+12+1] offset:13056 // lwoA_0_0_6_0 = (0*LSCA)*(MT0I+PAD) + (6*LSPA) = 13056
v_mfma_f32_16x16x16_bf16 a[156+0:159+0], v[vgprValuB_X1_I0+12+0+0:vgprValuB_X1_I0+12+0+0+1], v[vgprValuA_X1_I0+6+0+0:vgprValuA_X1_I0+6+0+0+1], a[156:159]
/*  mfmaIndex:88  */
v_mfma_f32_16x16x16_bf16 a[160+0:163+0], v[vgprValuB_X1_I0+12+0+0:vgprValuB_X1_I0+12+0+0+1], v[vgprValuA_X1_I0+8+0+0:vgprValuA_X1_I0+8+0+0+1], a[160:163]
/*  mfmaIndex:89  */
	;; [unrolled: 2-line block ×6, first 2 shown]
/* sched write - iter 1 writesPerItem=1 */
s_waitcnt vmcnt(0)                                 // lgkmcnt=-1 vmcnt=0wait for global read before writing to local
_ds_store_b64 v[vgprLocalWriteAddrA], v[vgprG2LA+14:vgprG2LA+14+1] offset:15232 // lwoA_0_0_7_0 = (0*LSCA)*(MT0I+PAD) + (7*LSPA) = 15232
v_mfma_f32_16x16x16_bf16 a[176+0:179+0], v[vgprValuB_X1_I0+14+0+0:vgprValuB_X1_I0+14+0+0+1], v[vgprValuA_X1_I0+4+0+0:vgprValuA_X1_I0+4+0+0+1], a[176:179]
/*  mfmaIndex:94  */
v_mfma_f32_16x16x16_bf16 a[172+0:175+0], v[vgprValuB_X1_I0+14+0+0:vgprValuB_X1_I0+14+0+0+1], v[vgprValuA_X1_I0+2+0+0:vgprValuA_X1_I0+2+0+0+1], a[172:175]
/*  mfmaIndex:95  */
v_mfma_f32_16x16x16_bf16 a[168+0:171+0], v[vgprValuB_X1_I0+14+0+0:vgprValuB_X1_I0+14+0+0+1], v[vgprValuA_X1_I0+0+0+0:vgprValuA_X1_I0+0+0+0+1], a[168:171]
/* numPrefetchIter=0 */
/* dataAtIterA=0 numReadsIterA=2 skipReadsIterA=1 readsPerIterA=6 */
/* dataAtIterB=0 numReadsIterB=2 skipReadsIterB=1 readsPerIterB=8 */


/* iter 2 (reset local read pointers iteration)  (swap local read pointers iteration)  */

/*  grEndMfmaIndex:12, lwStartMfmaIndex:51, lwEndMfmaIndex:167  */
/*  numMfmaForLR:19, barrierMfmaIndex:172, LocalWritePerMfma:0.165 */
/*  mfmaIndex:96  */
v_mfma_f32_16x16x16_bf16 a[0+0:3+0], v[vgprValuB_X2_I0+0+0+0:vgprValuB_X2_I0+0+0+0+1], v[vgprValuA_X2_I0+0+0+0:vgprValuA_X2_I0+0+0+0+1], a[0:3]
/*  mfmaIndex:97  */
v_mfma_f32_16x16x16_bf16 a[4+0:7+0], v[vgprValuB_X2_I0+0+0+0:vgprValuB_X2_I0+0+0+0+1], v[vgprValuA_X2_I0+2+0+0:vgprValuA_X2_I0+2+0+0+1], a[4:7]
	;; [unrolled: 2-line block ×3, first 2 shown]
/*  mfmaIndex:99  */
/* sched write - iter 2 writesPerItem=1 */
s_waitcnt vmcnt(0)                                 // lgkmcnt=-1 vmcnt=0wait for global read before writing to local
_ds_store_b64 v[vgprLocalWriteAddrA], v[vgprG2LA+16:vgprG2LA+16+1] offset:17408 // lwoA_0_0_8_0 = (0*LSCA)*(MT0I+PAD) + (8*LSPA) = 17408
v_mfma_f32_16x16x16_bf16 a[12+0:15+0], v[vgprValuB_X2_I0+0+0+0:vgprValuB_X2_I0+0+0+0+1], v[vgprValuA_X2_I0+6+0+0:vgprValuA_X2_I0+6+0+0+1], a[12:15]
/*  mfmaIndex:100  */
v_mfma_f32_16x16x16_bf16 a[16+0:19+0], v[vgprValuB_X2_I0+0+0+0:vgprValuB_X2_I0+0+0+0+1], v[vgprValuA_X2_I0+8+0+0:vgprValuA_X2_I0+8+0+0+1], a[16:19]
/*  mfmaIndex:101  */
	;; [unrolled: 2-line block ×6, first 2 shown]
/* sched write - iter 2 writesPerItem=1 */
s_waitcnt vmcnt(0)                                 // lgkmcnt=-1 vmcnt=0wait for global read before writing to local
_ds_store_b64 v[vgprLocalWriteAddrA], v[vgprG2LA+18:vgprG2LA+18+1] offset:19584 // lwoA_0_0_9_0 = (0*LSCA)*(MT0I+PAD) + (9*LSPA) = 19584
v_mfma_f32_16x16x16_bf16 a[32+0:35+0], v[vgprValuB_X2_I0+2+0+0:vgprValuB_X2_I0+2+0+0+1], v[vgprValuA_X2_I0+4+0+0:vgprValuA_X2_I0+4+0+0+1], a[32:35]
/*  mfmaIndex:106  */
v_mfma_f32_16x16x16_bf16 a[28+0:31+0], v[vgprValuB_X2_I0+2+0+0:vgprValuB_X2_I0+2+0+0+1], v[vgprValuA_X2_I0+2+0+0:vgprValuA_X2_I0+2+0+0+1], a[28:31]
/*  mfmaIndex:107  */
v_mfma_f32_16x16x16_bf16 a[24+0:27+0], v[vgprValuB_X2_I0+2+0+0:vgprValuB_X2_I0+2+0+0+1], v[vgprValuA_X2_I0+0+0+0:vgprValuA_X2_I0+0+0+0+1], a[24:27]
/*  mfmaIndex:108  */
v_mfma_f32_16x16x16_bf16 a[48+0:51+0], v[vgprValuB_X2_I0+4+0+0:vgprValuB_X2_I0+4+0+0+1], v[vgprValuA_X2_I0+0+0+0:vgprValuA_X2_I0+0+0+0+1], a[48:51]
/*  mfmaIndex:109  */
v_mfma_f32_16x16x16_bf16 a[52+0:55+0], v[vgprValuB_X2_I0+4+0+0:vgprValuB_X2_I0+4+0+0+1], v[vgprValuA_X2_I0+2+0+0:vgprValuA_X2_I0+2+0+0+1], a[52:55]
/*  mfmaIndex:110  */
v_mfma_f32_16x16x16_bf16 a[56+0:59+0], v[vgprValuB_X2_I0+4+0+0:vgprValuB_X2_I0+4+0+0+1], v[vgprValuA_X2_I0+4+0+0:vgprValuA_X2_I0+4+0+0+1], a[56:59]
/*  mfmaIndex:111  */
/* sched write - iter 2 writesPerItem=1 */
s_waitcnt vmcnt(0)                                 // lgkmcnt=-1 vmcnt=0wait for global read before writing to local
_ds_store_b64 v[vgprLocalWriteAddrA], v[vgprG2LA+20:vgprG2LA+20+1] offset:21760 // lwoA_0_0_10_0 = (0*LSCA)*(MT0I+PAD) + (10*LSPA) = 21760
v_mfma_f32_16x16x16_bf16 a[60+0:63+0], v[vgprValuB_X2_I0+4+0+0:vgprValuB_X2_I0+4+0+0+1], v[vgprValuA_X2_I0+6+0+0:vgprValuA_X2_I0+6+0+0+1], a[60:63]
/*  mfmaIndex:112  */
v_mfma_f32_16x16x16_bf16 a[64+0:67+0], v[vgprValuB_X2_I0+4+0+0:vgprValuB_X2_I0+4+0+0+1], v[vgprValuA_X2_I0+8+0+0:vgprValuA_X2_I0+8+0+0+1], a[64:67]
/*  mfmaIndex:113  */
	;; [unrolled: 2-line block ×6, first 2 shown]
/* sched write - iter 2 writesPerItem=1 */
s_waitcnt vmcnt(0)                                 // lgkmcnt=-1 vmcnt=0wait for global read before writing to local
_ds_store_b64 v[vgprLocalWriteAddrA], v[vgprG2LA+22:vgprG2LA+22+1] offset:23936 // lwoA_0_0_11_0 = (0*LSCA)*(MT0I+PAD) + (11*LSPA) = 23936
v_mfma_f32_16x16x16_bf16 a[80+0:83+0], v[vgprValuB_X2_I0+6+0+0:vgprValuB_X2_I0+6+0+0+1], v[vgprValuA_X2_I0+4+0+0:vgprValuA_X2_I0+4+0+0+1], a[80:83]
/*  mfmaIndex:118  */
v_mfma_f32_16x16x16_bf16 a[76+0:79+0], v[vgprValuB_X2_I0+6+0+0:vgprValuB_X2_I0+6+0+0+1], v[vgprValuA_X2_I0+2+0+0:vgprValuA_X2_I0+2+0+0+1], a[76:79]
/*  mfmaIndex:119  */
	;; [unrolled: 2-line block ×6, first 2 shown]
/* sched write - iter 2 writesPerItem=1 */
s_waitcnt vmcnt(0)                                 // lgkmcnt=-1 vmcnt=0wait for global read before writing to local
_ds_store_b128 v[vgprLocalWriteAddrB], v[vgprG2LB+0:vgprG2LB+0+3] offset:0 // lwoB_0_0_0_0 = (0*LSCB)*(MT1J+PAD) + (0*LSPB) = 0
v_mfma_f32_16x16x16_bf16 a[108+0:111+0], v[vgprValuB_X2_I0+8+0+0:vgprValuB_X2_I0+8+0+0+1], v[vgprValuA_X2_I0+6+0+0:vgprValuA_X2_I0+6+0+0+1], a[108:111]
/*  mfmaIndex:124  */
v_mfma_f32_16x16x16_bf16 a[112+0:115+0], v[vgprValuB_X2_I0+8+0+0:vgprValuB_X2_I0+8+0+0+1], v[vgprValuA_X2_I0+8+0+0:vgprValuA_X2_I0+8+0+0+1], a[112:115]
/*  mfmaIndex:125  */
	;; [unrolled: 2-line block ×6, first 2 shown]
/* sched write - iter 2 writesPerItem=1 */
s_waitcnt vmcnt(0)                                 // lgkmcnt=-1 vmcnt=0wait for global read before writing to local
_ds_store_b128 v[vgprLocalWriteAddrB], v[vgprG2LB+4:vgprG2LB+4+3] offset:4608 // lwoB_0_0_1_0 = (0*LSCB)*(MT1J+PAD) + (1*LSPB) = 4608
v_mfma_f32_16x16x16_bf16 a[128+0:131+0], v[vgprValuB_X2_I0+10+0+0:vgprValuB_X2_I0+10+0+0+1], v[vgprValuA_X2_I0+4+0+0:vgprValuA_X2_I0+4+0+0+1], a[128:131]
/*  mfmaIndex:130  */
v_mfma_f32_16x16x16_bf16 a[124+0:127+0], v[vgprValuB_X2_I0+10+0+0:vgprValuB_X2_I0+10+0+0+1], v[vgprValuA_X2_I0+2+0+0:vgprValuA_X2_I0+2+0+0+1], a[124:127]
/*  mfmaIndex:131  */
v_mfma_f32_16x16x16_bf16 a[120+0:123+0], v[vgprValuB_X2_I0+10+0+0:vgprValuB_X2_I0+10+0+0+1], v[vgprValuA_X2_I0+0+0+0:vgprValuA_X2_I0+0+0+0+1], a[120:123]
/*  mfmaIndex:132  */
v_mfma_f32_16x16x16_bf16 a[144+0:147+0], v[vgprValuB_X2_I0+12+0+0:vgprValuB_X2_I0+12+0+0+1], v[vgprValuA_X2_I0+0+0+0:vgprValuA_X2_I0+0+0+0+1], a[144:147]
/*  mfmaIndex:133  */
v_mfma_f32_16x16x16_bf16 a[148+0:151+0], v[vgprValuB_X2_I0+12+0+0:vgprValuB_X2_I0+12+0+0+1], v[vgprValuA_X2_I0+2+0+0:vgprValuA_X2_I0+2+0+0+1], a[148:151]
/*  mfmaIndex:134  */
v_mfma_f32_16x16x16_bf16 a[152+0:155+0], v[vgprValuB_X2_I0+12+0+0:vgprValuB_X2_I0+12+0+0+1], v[vgprValuA_X2_I0+4+0+0:vgprValuA_X2_I0+4+0+0+1], a[152:155]
/*  mfmaIndex:135  */
/* sched write - iter 2 writesPerItem=1 */
s_waitcnt vmcnt(0)                                 // lgkmcnt=-1 vmcnt=0wait for global read before writing to local
_ds_store_b128 v[vgprLocalWriteAddrB], v[vgprG2LB+8:vgprG2LB+8+3] offset:9216 // lwoB_0_0_2_0 = (0*LSCB)*(MT1J+PAD) + (2*LSPB) = 9216
v_mfma_f32_16x16x16_bf16 a[156+0:159+0], v[vgprValuB_X2_I0+12+0+0:vgprValuB_X2_I0+12+0+0+1], v[vgprValuA_X2_I0+6+0+0:vgprValuA_X2_I0+6+0+0+1], a[156:159]
/*  mfmaIndex:136  */
v_mfma_f32_16x16x16_bf16 a[160+0:163+0], v[vgprValuB_X2_I0+12+0+0:vgprValuB_X2_I0+12+0+0+1], v[vgprValuA_X2_I0+8+0+0:vgprValuA_X2_I0+8+0+0+1], a[160:163]
/*  mfmaIndex:137  */
	;; [unrolled: 2-line block ×6, first 2 shown]
/* sched write - iter 2 writesPerItem=1 */
s_waitcnt vmcnt(0)                                 // lgkmcnt=-1 vmcnt=0wait for global read before writing to local
_ds_store_b128 v[vgprLocalWriteAddrB], v[vgprG2LB+12:vgprG2LB+12+3] offset:13824 // lwoB_0_0_3_0 = (0*LSCB)*(MT1J+PAD) + (3*LSPB) = 13824
v_mfma_f32_16x16x16_bf16 a[176+0:179+0], v[vgprValuB_X2_I0+14+0+0:vgprValuB_X2_I0+14+0+0+1], v[vgprValuA_X2_I0+4+0+0:vgprValuA_X2_I0+4+0+0+1], a[176:179]
/*  mfmaIndex:142  */
v_mfma_f32_16x16x16_bf16 a[172+0:175+0], v[vgprValuB_X2_I0+14+0+0:vgprValuB_X2_I0+14+0+0+1], v[vgprValuA_X2_I0+2+0+0:vgprValuA_X2_I0+2+0+0+1], a[172:175]
/*  mfmaIndex:143  */

/* local read swap offsets a */

/* local read swap offsets b */

/* local read init pointers a */

/* localReadInitPointers */

/* local read init pointers b */

/* localReadInitPointers */
v_mfma_f32_16x16x16_bf16 a[168+0:171+0], v[vgprValuB_X2_I0+14+0+0:vgprValuB_X2_I0+14+0+0+1], v[vgprValuA_X2_I0+0+0+0:vgprValuA_X2_I0+0+0+0+1], a[168:171]


/* iter 3 (swap and reset local write pointers iteration)  */

/*  grEndMfmaIndex:12, lwStartMfmaIndex:51, lwEndMfmaIndex:167  */
/*  numMfmaForLR:19, barrierMfmaIndex:172, LocalWritePerMfma:0.165 */
/*  mfmaIndex:144  */
v_mfma_f32_16x16x16_bf16 a[0+0:3+0], v[vgprValuB_X3_I0+0+0+0:vgprValuB_X3_I0+0+0+0+1], v[vgprValuA_X3_I0+0+0+0:vgprValuA_X3_I0+0+0+0+1], a[0:3]
/*  mfmaIndex:145  */
v_mfma_f32_16x16x16_bf16 a[4+0:7+0], v[vgprValuB_X3_I0+0+0+0:vgprValuB_X3_I0+0+0+0+1], v[vgprValuA_X3_I0+2+0+0:vgprValuA_X3_I0+2+0+0+1], a[4:7]
	;; [unrolled: 2-line block ×3, first 2 shown]
/*  mfmaIndex:147  */
/* sched write - iter 3 writesPerItem=1 */
s_waitcnt vmcnt(0)                                 // lgkmcnt=-1 vmcnt=0wait for global read before writing to local
_ds_store_b128 v[vgprLocalWriteAddrB], v[vgprG2LB+16:vgprG2LB+16+3] offset:18432 // lwoB_0_0_4_0 = (0*LSCB)*(MT1J+PAD) + (4*LSPB) = 18432
v_mfma_f32_16x16x16_bf16 a[12+0:15+0], v[vgprValuB_X3_I0+0+0+0:vgprValuB_X3_I0+0+0+0+1], v[vgprValuA_X3_I0+6+0+0:vgprValuA_X3_I0+6+0+0+1], a[12:15]
/*  mfmaIndex:148  */
v_mfma_f32_16x16x16_bf16 a[16+0:19+0], v[vgprValuB_X3_I0+0+0+0:vgprValuB_X3_I0+0+0+0+1], v[vgprValuA_X3_I0+8+0+0:vgprValuA_X3_I0+8+0+0+1], a[16:19]
/*  mfmaIndex:149  */
	;; [unrolled: 2-line block ×7, first 2 shown]
/* sched write - iter 3 writesPerItem=1 */
s_waitcnt vmcnt(0)                                 // lgkmcnt=-1 vmcnt=0wait for global read before writing to local
_ds_store_b128 v[vgprLocalWriteAddrB], v[vgprG2LB+20:vgprG2LB+20+3] offset:23040 // lwoB_0_0_5_0 = (0*LSCB)*(MT1J+PAD) + (5*LSPB) = 23040
v_mfma_f32_16x16x16_bf16 a[28+0:31+0], v[vgprValuB_X3_I0+2+0+0:vgprValuB_X3_I0+2+0+0+1], v[vgprValuA_X3_I0+2+0+0:vgprValuA_X3_I0+2+0+0+1], a[28:31]
/*  mfmaIndex:155  */
v_mfma_f32_16x16x16_bf16 a[24+0:27+0], v[vgprValuB_X3_I0+2+0+0:vgprValuB_X3_I0+2+0+0+1], v[vgprValuA_X3_I0+0+0+0:vgprValuA_X3_I0+0+0+0+1], a[24:27]
/*  mfmaIndex:156  */
	;; [unrolled: 2-line block ×6, first 2 shown]
/* sched write - iter 3 writesPerItem=1 */
s_waitcnt vmcnt(0)                                 // lgkmcnt=-1 vmcnt=0wait for global read before writing to local
_ds_store_b128 v[vgprLocalWriteAddrB], v[vgprG2LB+24:vgprG2LB+24+3] offset:27648 // lwoB_0_0_6_0 = (0*LSCB)*(MT1J+PAD) + (6*LSPB) = 27648
v_mfma_f32_16x16x16_bf16 a[64+0:67+0], v[vgprValuB_X3_I0+4+0+0:vgprValuB_X3_I0+4+0+0+1], v[vgprValuA_X3_I0+8+0+0:vgprValuA_X3_I0+8+0+0+1], a[64:67]
/*  mfmaIndex:161  */
v_mfma_f32_16x16x16_bf16 a[68+0:71+0], v[vgprValuB_X3_I0+4+0+0:vgprValuB_X3_I0+4+0+0+1], v[vgprValuA_X3_I0+10+0+0:vgprValuA_X3_I0+10+0+0+1], a[68:71]
/*  mfmaIndex:162  */
	;; [unrolled: 2-line block ×6, first 2 shown]
/* sched write - iter 3 writesPerItem=1 */
s_waitcnt vmcnt(0)                                 // lgkmcnt=-1 vmcnt=0wait for global read before writing to local
_ds_store_b128 v[vgprLocalWriteAddrB], v[vgprG2LB+28:vgprG2LB+28+3] offset:32256 // lwoB_0_0_7_0 = (0*LSCB)*(MT1J+PAD) + (7*LSPB) = 32256
v_mfma_f32_16x16x16_bf16 a[76+0:79+0], v[vgprValuB_X3_I0+6+0+0:vgprValuB_X3_I0+6+0+0+1], v[vgprValuA_X3_I0+2+0+0:vgprValuA_X3_I0+2+0+0+1], a[76:79]
/*  mfmaIndex:167  */

/* local write swap offsets a */

/* local write swap offsets b */
v_mfma_f32_16x16x16_bf16 a[72+0:75+0], v[vgprValuB_X3_I0+6+0+0:vgprValuB_X3_I0+6+0+0+1], v[vgprValuA_X3_I0+0+0+0:vgprValuA_X3_I0+0+0+0+1], a[72:75]
/*  mfmaIndex:168  */
v_mfma_f32_16x16x16_bf16 a[96+0:99+0], v[vgprValuB_X3_I0+8+0+0:vgprValuB_X3_I0+8+0+0+1], v[vgprValuA_X3_I0+0+0+0:vgprValuA_X3_I0+0+0+0+1], a[96:99]
/*  mfmaIndex:169  */
	;; [unrolled: 2-line block ×4, first 2 shown]
v_mfma_f32_16x16x16_bf16 a[108+0:111+0], v[vgprValuB_X3_I0+8+0+0:vgprValuB_X3_I0+8+0+0+1], v[vgprValuA_X3_I0+6+0+0:vgprValuA_X3_I0+6+0+0+1], a[108:111]
s_setprio 0                                        // store optimization
/*  mfmaIndex:172  */
s_waitcnt lgkmcnt(0)                               // lgkmcnt=0 vmcnt=-13wait for local write
// Skip force waitcnt0
s_barrier //
v_mfma_f32_16x16x16_bf16 a[112+0:115+0], v[vgprValuB_X3_I0+8+0+0:vgprValuB_X3_I0+8+0+0+1], v[vgprValuA_X3_I0+8+0+0:vgprValuA_X3_I0+8+0+0+1], a[112:115]
/*  mfmaIndex:173  */
s_setprio 3                                        // store optimization
_ds_load_b64 v[vgprValuA_X0_I0+0:vgprValuA_X0_I0+0+1], v[vgprLocalReadAddrA] offset:0 // L -> Reg lro=0 swapByteOffset=0 ti=32 vIdx=0 rIdx=0 oIdx=0 buffer=0 iui=0
v_mfma_f32_16x16x16_bf16 a[116+0:119+0], v[vgprValuB_X3_I0+8+0+0:vgprValuB_X3_I0+8+0+0+1], v[vgprValuA_X3_I0+10+0+0:vgprValuA_X3_I0+10+0+0+1], a[116:119]
/*  mfmaIndex:174  */
_ds_load_b64 v[vgprValuB_X0_I0+0:vgprValuB_X0_I0+0+1], v[vgprLocalReadAddrB] offset:0 // L -> Reg lro=0 swapByteOffset=0 ti=32 vIdx=0 rIdx=0 oIdx=0 buffer=0 iui=0
v_mfma_f32_16x16x16_bf16 a[140+0:143+0], v[vgprValuB_X3_I0+10+0+0:vgprValuB_X3_I0+10+0+0+1], v[vgprValuA_X3_I0+10+0+0:vgprValuA_X3_I0+10+0+0+1], a[140:143]
/*  mfmaIndex:175  */
_ds_load_b64 v[vgprValuA_X0_I0+2:vgprValuA_X0_I0+2+1], v[vgprLocalReadAddrA] offset:4352 // L -> Reg lro=0 swapByteOffset=0 ti=32 vIdx=1 rIdx=0 oIdx=0 buffer=0 iui=0
v_mfma_f32_16x16x16_bf16 a[136+0:139+0], v[vgprValuB_X3_I0+10+0+0:vgprValuB_X3_I0+10+0+0+1], v[vgprValuA_X3_I0+8+0+0:vgprValuA_X3_I0+8+0+0+1], a[136:139]
/*  mfmaIndex:176  */
_ds_load_b64 v[vgprValuA_X0_I0+4:vgprValuA_X0_I0+4+1], v[vgprLocalReadAddrA] offset:8704 // L -> Reg lro=0 swapByteOffset=0 ti=32 vIdx=2 rIdx=0 oIdx=0 buffer=0 iui=0
	;; [unrolled: 3-line block ×5, first 2 shown]
v_mfma_f32_16x16x16_bf16 a[120+0:123+0], v[vgprValuB_X3_I0+10+0+0:vgprValuB_X3_I0+10+0+0+1], v[vgprValuA_X3_I0+0+0+0:vgprValuA_X3_I0+0+0+0+1], a[120:123]
/*  mfmaIndex:180  */
_ds_load_b64 v[vgprValuB_X0_I0+2:vgprValuB_X0_I0+2+1], v[vgprLocalReadAddrB] offset:4608 // L -> Reg lro=0 swapByteOffset=0 ti=32 vIdx=1 rIdx=0 oIdx=0 buffer=0 iui=0
v_mfma_f32_16x16x16_bf16 a[144+0:147+0], v[vgprValuB_X3_I0+12+0+0:vgprValuB_X3_I0+12+0+0+1], v[vgprValuA_X3_I0+0+0+0:vgprValuA_X3_I0+0+0+0+1], a[144:147]
/*  mfmaIndex:181  */
_ds_load_b64 v[vgprValuB_X0_I0+4:vgprValuB_X0_I0+4+1], v[vgprLocalReadAddrB] offset:9216 // L -> Reg lro=0 swapByteOffset=0 ti=32 vIdx=2 rIdx=0 oIdx=0 buffer=0 iui=0
	;; [unrolled: 3-line block ×7, first 2 shown]
v_mfma_f32_16x16x16_bf16 a[188+0:191+0], v[vgprValuB_X3_I0+14+0+0:vgprValuB_X3_I0+14+0+0+1], v[vgprValuA_X3_I0+10+0+0:vgprValuA_X3_I0+10+0+0+1], a[188:191]
/*  mfmaIndex:187  */
v_mfma_f32_16x16x16_bf16 a[184+0:187+0], v[vgprValuB_X3_I0+14+0+0:vgprValuB_X3_I0+14+0+0+1], v[vgprValuA_X3_I0+8+0+0:vgprValuA_X3_I0+8+0+0+1], a[184:187]
/*  mfmaIndex:188  */
	;; [unrolled: 2-line block ×5, first 2 shown]
v_mfma_f32_16x16x16_bf16 a[168+0:171+0], v[vgprValuB_X3_I0+14+0+0:vgprValuB_X3_I0+14+0+0+1], v[vgprValuA_X3_I0+0+0+0:vgprValuA_X3_I0+0+0+0+1], a[168:171]
s_setprio 0                                        // store optimization

label_0014:


/******************************************/
/* Opt. NoLoadLoop Without PAP - Begin                                      */
/******************************************/

s_cmpk_eq_u32 s[sgprBeta], 0x0                     // Beta == 0
s_cbranch_scc0 OptNLL_End_17                       // Branch if Beta is not zero

s_cmp_eq_u32 s[sgprAlpha], 1.0                     // Alpha == 1.0 ?
s_cbranch_scc0 OptNLL_End_17                       // branch if alpha != 1

s_mov_b32 s35, 0x0                                 // STATIC_DIV: divisior=192
s_mul_i32 s34, 0x2aa, s[sgprSizeI]                 // tmp1 = dividend * magic hi
s_lshl_b64 s[34:35], s[34:35], 0x10                // left shift 16 bits
s_mul_i32 s33, s[sgprSizeI], 0xaaab                // tmp0 = dividend * magic lo
s_add_u32 s34, s33, s34                            // add lo
s_addc_u32 s35, s35, 0x0                           // add hi
s_lshr_b64 s[34:35], s[34:35], 0x21                // tmp1 = (dividend * magic) << shift
s_mov_b32 s33, s34                                 // quotient
s_mul_i32 s34, s33, 0xc0                           // quotient*divisor
s_sub_u32 s32, s[sgprSizeI], s34                   // rReg = dividend - quotient*divisor
s_add_u32 s33, -0x1, s[sgprNumWorkGroups0]         // 
s_cmp_ge_u32 s[sgprWorkGroup0], s33                // wg0 >= nwg0-1 ?
s_cselect_b32 s32, s32, 0                          // set rMT0
s_cmpk_gt_u32 s32, 0x0                             // rMT0 > 0
s_cbranch_scc1 OptNLL_End_17                       // jump if edges required
s_and_b32 s32, 255, s[sgprSizeJ]                   // s32 = s[sgprSizeJ] % 256
s_add_u32 s33, -0x1, s[sgprNumWorkGroups1]         // 
s_cmp_ge_u32 s[sgprWorkGroup1], s33                // wg1 >= nwg1-1
s_cselect_b32 s32, s32, 0                          // set rMT1
s_cmpk_gt_u32 s32, 0x0                             // rMT1 > 0
s_cbranch_scc1 OptNLL_End_17                       // jump if edges required

s_and_b32 s33, 63, s[sgprSizesSum+0]               // s33 = s[sgprSizesSum+0] % 64
s_cmp_eq_u32 s33, 0x0                              // numIterL == 0
s_cbranch_scc0 OptNLL_End_17                       // skip if tail loop required


	;; [unrolled: 1-line block ×3, first 2 shown]
/* iter 0 (last unrolled loop) */

/*  grEndMfmaIndex:0, lwStartMfmaIndex:167, lwEndMfmaIndex:167  */
/*  numMfmaForLR:19, barrierMfmaIndex:172, LocalWritePerMfma:0.165 */
/*  mfmaIndex:0  */
s_waitcnt lgkmcnt(0)                               // lgkmcnt=0 vmcnt=-1wait for prior local read local write old=0, new=0 newLW=0 newLR=0
v_mfma_f32_16x16x16_bf16 a[0+0:3+0], v[vgprValuB_X0_I0+0+0+0:vgprValuB_X0_I0+0+0+0+1], v[vgprValuA_X0_I0+0+0+0:vgprValuA_X0_I0+0+0+0+1], a[0:3]
/*  mfmaIndex:1  */
_ds_load_b64 v[vgprValuA_X1_I0+0:vgprValuA_X1_I0+0+1], v[vgprLocalReadAddrA] offset:32 // L -> Reg lro=16 swapByteOffset=0 ti=32 vIdx=0 rIdx=0 oIdx=0 buffer=1 iui=0
v_mfma_f32_16x16x16_bf16 a[4+0:7+0], v[vgprValuB_X0_I0+0+0+0:vgprValuB_X0_I0+0+0+0+1], v[vgprValuA_X0_I0+2+0+0:vgprValuA_X0_I0+2+0+0+1], a[4:7]
/*  mfmaIndex:2  */
_ds_load_b64 v[vgprValuB_X1_I0+0:vgprValuB_X1_I0+0+1], v[vgprLocalReadAddrB] offset:32 // L -> Reg lro=16 swapByteOffset=0 ti=32 vIdx=0 rIdx=0 oIdx=0 buffer=1 iui=0
v_mfma_f32_16x16x16_bf16 a[8+0:11+0], v[vgprValuB_X0_I0+0+0+0:vgprValuB_X0_I0+0+0+0+1], v[vgprValuA_X0_I0+4+0+0:vgprValuA_X0_I0+4+0+0+1], a[8:11]
/*  mfmaIndex:3  */
_ds_load_b64 v[vgprValuA_X1_I0+2:vgprValuA_X1_I0+2+1], v[vgprLocalReadAddrA] offset:4384 // L -> Reg lro=16 swapByteOffset=0 ti=32 vIdx=1 rIdx=0 oIdx=0 buffer=1 iui=0
v_mfma_f32_16x16x16_bf16 a[12+0:15+0], v[vgprValuB_X0_I0+0+0+0:vgprValuB_X0_I0+0+0+0+1], v[vgprValuA_X0_I0+6+0+0:vgprValuA_X0_I0+6+0+0+1], a[12:15]
/*  mfmaIndex:4  */
_ds_load_b64 v[vgprValuA_X1_I0+4:vgprValuA_X1_I0+4+1], v[vgprLocalReadAddrA] offset:8736 // L -> Reg lro=16 swapByteOffset=0 ti=32 vIdx=2 rIdx=0 oIdx=0 buffer=1 iui=0
	;; [unrolled: 3-line block ×5, first 2 shown]
v_mfma_f32_16x16x16_bf16 a[40+0:43+0], v[vgprValuB_X0_I0+2+0+0:vgprValuB_X0_I0+2+0+0+1], v[vgprValuA_X0_I0+8+0+0:vgprValuA_X0_I0+8+0+0+1], a[40:43]
/*  mfmaIndex:8  */
_ds_load_b64 v[vgprValuB_X1_I0+2:vgprValuB_X1_I0+2+1], v[vgprLocalReadAddrB] offset:4640 // L -> Reg lro=16 swapByteOffset=0 ti=32 vIdx=1 rIdx=0 oIdx=0 buffer=1 iui=0
v_mfma_f32_16x16x16_bf16 a[36+0:39+0], v[vgprValuB_X0_I0+2+0+0:vgprValuB_X0_I0+2+0+0+1], v[vgprValuA_X0_I0+6+0+0:vgprValuA_X0_I0+6+0+0+1], a[36:39]
/*  mfmaIndex:9  */
_ds_load_b64 v[vgprValuB_X1_I0+4:vgprValuB_X1_I0+4+1], v[vgprLocalReadAddrB] offset:9248 // L -> Reg lro=16 swapByteOffset=0 ti=32 vIdx=2 rIdx=0 oIdx=0 buffer=1 iui=0
	;; [unrolled: 3-line block ×7, first 2 shown]
v_mfma_f32_16x16x16_bf16 a[56+0:59+0], v[vgprValuB_X0_I0+4+0+0:vgprValuB_X0_I0+4+0+0+1], v[vgprValuA_X0_I0+4+0+0:vgprValuA_X0_I0+4+0+0+1], a[56:59]
/*  mfmaIndex:15  */
/* localReadsVacancy: latencyLeft 2 */
_ds_load_b64 v[vgprValuA_X2_I0+0:vgprValuA_X2_I0+0+1], v[vgprLocalReadAddrA] offset:64 // L -> Reg lro=32 swapByteOffset=0 ti=32 vIdx=0 rIdx=0 oIdx=0 buffer=2 iui=0
v_mfma_f32_16x16x16_bf16 a[60+0:63+0], v[vgprValuB_X0_I0+4+0+0:vgprValuB_X0_I0+4+0+0+1], v[vgprValuA_X0_I0+6+0+0:vgprValuA_X0_I0+6+0+0+1], a[60:63]
/*  mfmaIndex:16  */
/* localReadsVacancy: latencyLeft 2 */
_ds_load_b64 v[vgprValuB_X2_I0+0:vgprValuB_X2_I0+0+1], v[vgprLocalReadAddrB] offset:64 // L -> Reg lro=32 swapByteOffset=0 ti=32 vIdx=0 rIdx=0 oIdx=0 buffer=2 iui=0
v_mfma_f32_16x16x16_bf16 a[64+0:67+0], v[vgprValuB_X0_I0+4+0+0:vgprValuB_X0_I0+4+0+0+1], v[vgprValuA_X0_I0+8+0+0:vgprValuA_X0_I0+8+0+0+1], a[64:67]
/*  mfmaIndex:17  */
/* localReadsVacancy: latencyLeft 2 */
_ds_load_b64 v[vgprValuA_X2_I0+2:vgprValuA_X2_I0+2+1], v[vgprLocalReadAddrA] offset:4416 // L -> Reg lro=32 swapByteOffset=0 ti=32 vIdx=1 rIdx=0 oIdx=0 buffer=2 iui=0
v_mfma_f32_16x16x16_bf16 a[68+0:71+0], v[vgprValuB_X0_I0+4+0+0:vgprValuB_X0_I0+4+0+0+1], v[vgprValuA_X0_I0+10+0+0:vgprValuA_X0_I0+10+0+0+1], a[68:71]
/*  mfmaIndex:18  */
/* localReadsVacancy: latencyLeft 2 */
_ds_load_b64 v[vgprValuA_X2_I0+4:vgprValuA_X2_I0+4+1], v[vgprLocalReadAddrA] offset:8768 // L -> Reg lro=32 swapByteOffset=0 ti=32 vIdx=2 rIdx=0 oIdx=0 buffer=2 iui=0
	;; [unrolled: 4-line block ×5, first 2 shown]
v_mfma_f32_16x16x16_bf16 a[80+0:83+0], v[vgprValuB_X0_I0+6+0+0:vgprValuB_X0_I0+6+0+0+1], v[vgprValuA_X0_I0+4+0+0:vgprValuA_X0_I0+4+0+0+1], a[80:83]
/*  mfmaIndex:22  */
/* localReadsVacancy: latencyLeft 2 */
_ds_load_b64 v[vgprValuB_X2_I0+2:vgprValuB_X2_I0+2+1], v[vgprLocalReadAddrB] offset:4672 // L -> Reg lro=32 swapByteOffset=0 ti=32 vIdx=1 rIdx=0 oIdx=0 buffer=2 iui=0
v_mfma_f32_16x16x16_bf16 a[76+0:79+0], v[vgprValuB_X0_I0+6+0+0:vgprValuB_X0_I0+6+0+0+1], v[vgprValuA_X0_I0+2+0+0:vgprValuA_X0_I0+2+0+0+1], a[76:79]
/*  mfmaIndex:23  */
/* localReadsVacancy: latencyLeft 2 */
_ds_load_b64 v[vgprValuB_X2_I0+4:vgprValuB_X2_I0+4+1], v[vgprLocalReadAddrB] offset:9280 // L -> Reg lro=32 swapByteOffset=0 ti=32 vIdx=2 rIdx=0 oIdx=0 buffer=2 iui=0
v_mfma_f32_16x16x16_bf16 a[72+0:75+0], v[vgprValuB_X0_I0+6+0+0:vgprValuB_X0_I0+6+0+0+1], v[vgprValuA_X0_I0+0+0+0:vgprValuA_X0_I0+0+0+0+1], a[72:75]
/*  mfmaIndex:24  */
/* localReadsVacancy: latencyLeft 2 */
_ds_load_b64 v[vgprValuB_X2_I0+6:vgprValuB_X2_I0+6+1], v[vgprLocalReadAddrB] offset:13888 // L -> Reg lro=32 swapByteOffset=0 ti=32 vIdx=3 rIdx=0 oIdx=0 buffer=2 iui=0
v_mfma_f32_16x16x16_bf16 a[96+0:99+0], v[vgprValuB_X0_I0+8+0+0:vgprValuB_X0_I0+8+0+0+1], v[vgprValuA_X0_I0+0+0+0:vgprValuA_X0_I0+0+0+0+1], a[96:99]
/*  mfmaIndex:25  */
/* localReadsVacancy: latencyLeft 2 */
_ds_load_b64 v[vgprValuB_X2_I0+8:vgprValuB_X2_I0+8+1], v[vgprLocalReadAddrB] offset:18496 // L -> Reg lro=32 swapByteOffset=0 ti=32 vIdx=4 rIdx=0 oIdx=0 buffer=2 iui=0
v_mfma_f32_16x16x16_bf16 a[100+0:103+0], v[vgprValuB_X0_I0+8+0+0:vgprValuB_X0_I0+8+0+0+1], v[vgprValuA_X0_I0+2+0+0:vgprValuA_X0_I0+2+0+0+1], a[100:103]
/*  mfmaIndex:26  */
/* localReadsVacancy: latencyLeft 2 */
_ds_load_b64 v[vgprValuB_X2_I0+10:vgprValuB_X2_I0+10+1], v[vgprLocalReadAddrB] offset:23104 // L -> Reg lro=32 swapByteOffset=0 ti=32 vIdx=5 rIdx=0 oIdx=0 buffer=2 iui=0
v_mfma_f32_16x16x16_bf16 a[104+0:107+0], v[vgprValuB_X0_I0+8+0+0:vgprValuB_X0_I0+8+0+0+1], v[vgprValuA_X0_I0+4+0+0:vgprValuA_X0_I0+4+0+0+1], a[104:107]
/*  mfmaIndex:27  */
/* localReadsVacancy: latencyLeft 2 */
_ds_load_b64 v[vgprValuB_X2_I0+12:vgprValuB_X2_I0+12+1], v[vgprLocalReadAddrB] offset:27712 // L -> Reg lro=32 swapByteOffset=0 ti=32 vIdx=6 rIdx=0 oIdx=0 buffer=2 iui=0
v_mfma_f32_16x16x16_bf16 a[108+0:111+0], v[vgprValuB_X0_I0+8+0+0:vgprValuB_X0_I0+8+0+0+1], v[vgprValuA_X0_I0+6+0+0:vgprValuA_X0_I0+6+0+0+1], a[108:111]
/*  mfmaIndex:28  */
/* localReadsVacancy: latencyLeft 2 */
_ds_load_b64 v[vgprValuB_X2_I0+14:vgprValuB_X2_I0+14+1], v[vgprLocalReadAddrB] offset:32320 // L -> Reg lro=32 swapByteOffset=0 ti=32 vIdx=7 rIdx=0 oIdx=0 buffer=2 iui=0
v_mfma_f32_16x16x16_bf16 a[112+0:115+0], v[vgprValuB_X0_I0+8+0+0:vgprValuB_X0_I0+8+0+0+1], v[vgprValuA_X0_I0+8+0+0:vgprValuA_X0_I0+8+0+0+1], a[112:115]
/*  mfmaIndex:29  */
/* localReadsVacancy: latencyLeft 2 */
_ds_load_b64 v[vgprValuA_X3_I0+0:vgprValuA_X3_I0+0+1], v[vgprLocalReadAddrA] offset:96 // L -> Reg lro=48 swapByteOffset=0 ti=32 vIdx=0 rIdx=0 oIdx=0 buffer=3 iui=0
v_mfma_f32_16x16x16_bf16 a[116+0:119+0], v[vgprValuB_X0_I0+8+0+0:vgprValuB_X0_I0+8+0+0+1], v[vgprValuA_X0_I0+10+0+0:vgprValuA_X0_I0+10+0+0+1], a[116:119]
/*  mfmaIndex:30  */
/* localReadsVacancy: latencyLeft 2 */
_ds_load_b64 v[vgprValuB_X3_I0+0:vgprValuB_X3_I0+0+1], v[vgprLocalReadAddrB] offset:96 // L -> Reg lro=48 swapByteOffset=0 ti=32 vIdx=0 rIdx=0 oIdx=0 buffer=3 iui=0
v_mfma_f32_16x16x16_bf16 a[140+0:143+0], v[vgprValuB_X0_I0+10+0+0:vgprValuB_X0_I0+10+0+0+1], v[vgprValuA_X0_I0+10+0+0:vgprValuA_X0_I0+10+0+0+1], a[140:143]
/*  mfmaIndex:31  */
/* localReadsVacancy: latencyLeft 2 */
_ds_load_b64 v[vgprValuA_X3_I0+2:vgprValuA_X3_I0+2+1], v[vgprLocalReadAddrA] offset:4448 // L -> Reg lro=48 swapByteOffset=0 ti=32 vIdx=1 rIdx=0 oIdx=0 buffer=3 iui=0
v_mfma_f32_16x16x16_bf16 a[136+0:139+0], v[vgprValuB_X0_I0+10+0+0:vgprValuB_X0_I0+10+0+0+1], v[vgprValuA_X0_I0+8+0+0:vgprValuA_X0_I0+8+0+0+1], a[136:139]
/*  mfmaIndex:32  */
/* localReadsVacancy: latencyLeft 2 */
_ds_load_b64 v[vgprValuA_X3_I0+4:vgprValuA_X3_I0+4+1], v[vgprLocalReadAddrA] offset:8800 // L -> Reg lro=48 swapByteOffset=0 ti=32 vIdx=2 rIdx=0 oIdx=0 buffer=3 iui=0
	;; [unrolled: 4-line block ×5, first 2 shown]
v_mfma_f32_16x16x16_bf16 a[120+0:123+0], v[vgprValuB_X0_I0+10+0+0:vgprValuB_X0_I0+10+0+0+1], v[vgprValuA_X0_I0+0+0+0:vgprValuA_X0_I0+0+0+0+1], a[120:123]
/*  mfmaIndex:36  */
/* localReadsVacancy: latencyLeft 2 */
_ds_load_b64 v[vgprValuB_X3_I0+2:vgprValuB_X3_I0+2+1], v[vgprLocalReadAddrB] offset:4704 // L -> Reg lro=48 swapByteOffset=0 ti=32 vIdx=1 rIdx=0 oIdx=0 buffer=3 iui=0
v_mfma_f32_16x16x16_bf16 a[144+0:147+0], v[vgprValuB_X0_I0+12+0+0:vgprValuB_X0_I0+12+0+0+1], v[vgprValuA_X0_I0+0+0+0:vgprValuA_X0_I0+0+0+0+1], a[144:147]
/*  mfmaIndex:37  */
/* localReadsVacancy: latencyLeft 2 */
_ds_load_b64 v[vgprValuB_X3_I0+4:vgprValuB_X3_I0+4+1], v[vgprLocalReadAddrB] offset:9312 // L -> Reg lro=48 swapByteOffset=0 ti=32 vIdx=2 rIdx=0 oIdx=0 buffer=3 iui=0
	;; [unrolled: 4-line block ×7, first 2 shown]
v_mfma_f32_16x16x16_bf16 a[188+0:191+0], v[vgprValuB_X0_I0+14+0+0:vgprValuB_X0_I0+14+0+0+1], v[vgprValuA_X0_I0+10+0+0:vgprValuA_X0_I0+10+0+0+1], a[188:191]
/*  mfmaIndex:43  */
/* localReadsVacancy: latencyLeft 2 */
v_mfma_f32_16x16x16_bf16 a[184+0:187+0], v[vgprValuB_X0_I0+14+0+0:vgprValuB_X0_I0+14+0+0+1], v[vgprValuA_X0_I0+8+0+0:vgprValuA_X0_I0+8+0+0+1], a[184:187]
/*  mfmaIndex:44  */
/* localReadsVacancy: latencyLeft 2 */
	;; [unrolled: 3-line block ×5, first 2 shown]
v_mfma_f32_16x16x16_bf16 a[168+0:171+0], v[vgprValuB_X0_I0+14+0+0:vgprValuB_X0_I0+14+0+0+1], v[vgprValuA_X0_I0+0+0+0:vgprValuA_X0_I0+0+0+0+1], a[168:171]
/* numPrefetchIter=0 */
/* dataAtIterA=-1 numReadsIterA=1 skipReadsIterA=1 readsPerIterA=6 */
/* dataAtIterB=-1 numReadsIterB=1 skipReadsIterB=1 readsPerIterB=8 */


/* iter 1 (last unrolled loop) */

/*  grEndMfmaIndex:0, lwStartMfmaIndex:167, lwEndMfmaIndex:167  */
/*  numMfmaForLR:19, barrierMfmaIndex:172, LocalWritePerMfma:0.165 */
/*  mfmaIndex:48  */
/* localReadsVacancy: latencyLeft 2 */
s_waitcnt lgkmcnt(15)                              // lgkmcnt=0 vmcnt=-1wait for prior local read local write old=14, new=14 newLW=0 newLR=0
v_mfma_f32_16x16x16_bf16 a[0+0:3+0], v[vgprValuB_X1_I0+0+0+0:vgprValuB_X1_I0+0+0+0+1], v[vgprValuA_X1_I0+0+0+0:vgprValuA_X1_I0+0+0+0+1], a[0:3]
/*  mfmaIndex:49  */
/* localReadsVacancy: latencyLeft 2 */
v_mfma_f32_16x16x16_bf16 a[4+0:7+0], v[vgprValuB_X1_I0+0+0+0:vgprValuB_X1_I0+0+0+0+1], v[vgprValuA_X1_I0+2+0+0:vgprValuA_X1_I0+2+0+0+1], a[4:7]
/*  mfmaIndex:50  */
/* localReadsVacancy: latencyLeft 2 */
	;; [unrolled: 3-line block ×47, first 2 shown]
v_mfma_f32_16x16x16_bf16 a[168+0:171+0], v[vgprValuB_X1_I0+14+0+0:vgprValuB_X1_I0+14+0+0+1], v[vgprValuA_X1_I0+0+0+0:vgprValuA_X1_I0+0+0+0+1], a[168:171]
/* numPrefetchIter=0 */
/* dataAtIterA=0 numReadsIterA=2 skipReadsIterA=1 readsPerIterA=6 */
/* dataAtIterB=0 numReadsIterB=2 skipReadsIterB=1 readsPerIterB=8 */


/* iter 2 (last unrolled loop) */

/*  grEndMfmaIndex:0, lwStartMfmaIndex:167, lwEndMfmaIndex:167  */
/*  numMfmaForLR:19, barrierMfmaIndex:172, LocalWritePerMfma:0.165 */
/*  mfmaIndex:96  */
/* localReadsVacancy: latencyLeft 2 */
s_waitcnt lgkmcnt(0)                               // lgkmcnt=0 vmcnt=-1wait for prior local read local write old=0, new=0 newLW=0 newLR=0
v_mfma_f32_16x16x16_bf16 a[0+0:3+0], v[vgprValuB_X2_I0+0+0+0:vgprValuB_X2_I0+0+0+0+1], v[vgprValuA_X2_I0+0+0+0:vgprValuA_X2_I0+0+0+0+1], a[0:3]
/*  mfmaIndex:97  */
/* localReadsVacancy: latencyLeft 2 */
v_mfma_f32_16x16x16_bf16 a[4+0:7+0], v[vgprValuB_X2_I0+0+0+0:vgprValuB_X2_I0+0+0+0+1], v[vgprValuA_X2_I0+2+0+0:vgprValuA_X2_I0+2+0+0+1], a[4:7]
/*  mfmaIndex:98  */
/* localReadsVacancy: latencyLeft 2 */
	;; [unrolled: 3-line block ×47, first 2 shown]
v_mfma_f32_16x16x16_bf16 a[168+0:171+0], v[vgprValuB_X2_I0+14+0+0:vgprValuB_X2_I0+14+0+0+1], v[vgprValuA_X2_I0+0+0+0:vgprValuA_X2_I0+0+0+0+1], a[168:171]
/* numPrefetchIter=0 */
/* dataAtIterA=1 numReadsIterA=3 skipReadsIterA=1 readsPerIterA=6 */
/* dataAtIterB=1 numReadsIterB=3 skipReadsIterB=1 readsPerIterB=8 */


/* iter 3 (last unrolled loop) */

/*  grEndMfmaIndex:0, lwStartMfmaIndex:167, lwEndMfmaIndex:167  */
/*  numMfmaForLR:19, barrierMfmaIndex:172, LocalWritePerMfma:0.165 */
/*  mfmaIndex:144  */
s_waitcnt lgkmcnt(0)                               // lgkmcnt=0 vmcnt=-1wait for prior local read local write old=0, new=0 newLW=0 newLR=0
v_mfma_f32_16x16x16_bf16 a[0+0:3+0], v[vgprValuB_X3_I0+0+0+0:vgprValuB_X3_I0+0+0+0+1], v[vgprValuA_X3_I0+0+0+0:vgprValuA_X3_I0+0+0+0+1], a[0:3]
/*  mfmaIndex:145  */
v_mfma_f32_16x16x16_bf16 a[4+0:7+0], v[vgprValuB_X3_I0+0+0+0:vgprValuB_X3_I0+0+0+0+1], v[vgprValuA_X3_I0+2+0+0:vgprValuA_X3_I0+2+0+0+1], a[4:7]
/*  mfmaIndex:146  */
	;; [unrolled: 2-line block ×22, first 2 shown]
/* 1 LDS buffer: read-sync-write */
s_waitcnt lgkmcnt(0)                               // 
s_barrier                                          // 
v_mfma_f32_16x16x16_bf16 a[76+0:79+0], v[vgprValuB_X3_I0+6+0+0:vgprValuB_X3_I0+6+0+0+1], v[vgprValuA_X3_I0+2+0+0:vgprValuA_X3_I0+2+0+0+1], a[76:79]
/*  mfmaIndex:167  */
s_setprio 3                                        // store optimization
v_mfma_f32_16x16x16_bf16 a[72+0:75+0], v[vgprValuB_X3_I0+6+0+0:vgprValuB_X3_I0+6+0+0+1], v[vgprValuA_X3_I0+0+0+0:vgprValuA_X3_I0+0+0+0+1], a[72:75]
/*  mfmaIndex:168  */
v_mfma_f32_16x16x16_bf16 a[96+0:99+0], v[vgprValuB_X3_I0+8+0+0:vgprValuB_X3_I0+8+0+0+1], v[vgprValuA_X3_I0+0+0+0:vgprValuA_X3_I0+0+0+0+1], a[96:99]
/*  mfmaIndex:169  */
	;; [unrolled: 2-line block ×4, first 2 shown]
v_mfma_f32_16x16x16_bf16 a[108+0:111+0], v[vgprValuB_X3_I0+8+0+0:vgprValuB_X3_I0+8+0+0+1], v[vgprValuA_X3_I0+6+0+0:vgprValuA_X3_I0+6+0+0+1], a[108:111]
s_setprio 0                                        // store optimization
/*  mfmaIndex:172  */
v_mfma_f32_16x16x16_bf16 a[112+0:115+0], v[vgprValuB_X3_I0+8+0+0:vgprValuB_X3_I0+8+0+0+1], v[vgprValuA_X3_I0+8+0+0:vgprValuA_X3_I0+8+0+0+1], a[112:115]
/*  mfmaIndex:173  */
s_setprio 3                                        // store optimization
v_mfma_f32_16x16x16_bf16 a[116+0:119+0], v[vgprValuB_X3_I0+8+0+0:vgprValuB_X3_I0+8+0+0+1], v[vgprValuA_X3_I0+10+0+0:vgprValuA_X3_I0+10+0+0+1], a[116:119]
/*  mfmaIndex:174  */
v_mfma_f32_16x16x16_bf16 a[140+0:143+0], v[vgprValuB_X3_I0+10+0+0:vgprValuB_X3_I0+10+0+0+1], v[vgprValuA_X3_I0+10+0+0:vgprValuA_X3_I0+10+0+0+1], a[140:143]
/*  mfmaIndex:175  */
	;; [unrolled: 2-line block ×18, first 2 shown]
v_mfma_f32_16x16x16_bf16 a[168+0:171+0], v[vgprValuB_X3_I0+14+0+0:vgprValuB_X3_I0+14+0+0+1], v[vgprValuA_X3_I0+0+0+0:vgprValuA_X3_I0+0+0+0+1], a[168:171]
/* numPrefetchIter=0 */
/* dataAtIterA=2 numReadsIterA=3 skipReadsIterA=0 readsPerIterA=6 */
/* dataAtIterB=2 numReadsIterB=3 skipReadsIterB=0 readsPerIterB=8 */

/* Stores for OptNLL */
Summation_End_OptNLL_18:
s_setprio 0                                        // optimization store
/* endSummation: add vgpr [0...172) to pool */
.set NumFullBlocks, UNDEF
.set WgmRemainder1, UNDEF
.set MagicNumberWgmRemainder1, UNDEF
.set ScalarGlobalReadOffsetA, UNDEF
.set ScalarGlobalReadOffsetB, UNDEF

/* Mapping of Acc register -> C Vgpr register */
/* computeStoreVgprs */
v_lshrrev_b32 v4, 6, v[vgprSerial]                 // v4 = v[vgprSerial] / 64
v_and_b32 v1, 63, v[vgprSerial]                    // v1 = v[vgprSerial] % 64
v_lshrrev_b32 v1, 4, v1                            // v1 = v1 / 16
v_lshlrev_b32 v1, 0x2, v1                          // thread0 * continuous_output
v_lshrrev_b32 v5, 1, v4                            // v5 = v4 / 2
v_mul_lo_u32 v5, 0x10, v5                          // wave coordination offset 1
_v_add_lshl_u32 v1, v5, v1, 0                      // coordination 1 = vwb *(wave_id1 + tid1)
v_mul_lo_u32 v2, v1, s[sgprStrideC1J]              //  offset 1
v_mul_lo_u32 v3, v1, s[sgprStrideD1J]              //  offset 1
v_and_b32 v5, 1, v4                                // v5 = v4 % 2
v_mul_lo_u32 v5, 0x10, v5                          // wave coordination offset 0
v_and_b32 v0, 15, v[vgprSerial]                    // v0 = v[vgprSerial] % 16
_v_add_lshl_u32 v0, v5, v0, 0                      // coordination 0 = vwa *(wave_id0 + tid0)
s_mul_i32 s31, 192, s[sgprWorkGroup0]              // wgp0 * MT0
_v_add_u32 v0, s31, v0                             // coord 0 = (tid0/MI_m)*4 + waveG0*MIB_m + MT0*SG0
s_mul_i32 s31, 256, s[sgprWorkGroup1]              // wgp1 * MT1
_v_add_u32 v1, s31, v1                             // coord 1 = (tid0%MI_m) + waveG1*MIB_n + MT1*SG1
GW_B0_E0_21:

/* edge=0, allocate 2 sgpr. perBatchTmpS=2 perBatchMaskS=0 perElementMaskS=0 elementsPerBatch=240 */
/* optSingleColVgpr=1 optSharedColVgpr=0 optSGPRUsage=BufferLoad_Mask optSrdIncForRow=1 */
s_sleep 5 // optimization: sync and wait
s_barrier

/******************************************/
/* Global Write Batch #0 (d1,d0,vc1,vc0) = */
/*    (0,0,0,0:vw1); (0,1,0,0:vw1); (0,2,0,0:vw1); (0,3,0,0:vw1); (0,4,0,0:vw1); (0,5,0,0:vw1); (0,0,1,0:vw1); (0,1,1,0:vw1); (0,2,1,0:vw1); (0,3,1,0:vw1); (0,4,1,0:vw1); (0,5,1,0:vw1); (0,0,2,0:vw1); (0,1,2,0:vw1); (0,2,2,0:vw1); (0,3,2,0:vw1); (0,4,2,0:vw1); (0,5,2,0:vw1); (0,0,3,0:vw1); (0,1,3,0:vw1); (0,2,3,0:vw1); (0,3,3,0:vw1); (0,4,3,0:vw1); (0,5,3,0:vw1); (1,0,0,0:vw1); (1,1,0,0:vw1); (1,2,0,0:vw1); (1,3,0,0:vw1); (1,4,0,0:vw1); (1,5,0,0:vw1); (1,0,1,0:vw1); (1,1,1,0:vw1); (1,2,1,0:vw1); (1,3,1,0:vw1); (1,4,1,0:vw1); (1,5,1,0:vw1); (1,0,2,0:vw1); (1,1,2,0:vw1); (1,2,2,0:vw1); (1,3,2,0:vw1); (1,4,2,0:vw1); (1,5,2,0:vw1); (1,0,3,0:vw1); (1,1,3,0:vw1); (1,2,3,0:vw1); (1,3,3,0:vw1); (1,4,3,0:vw1); (1,5,3,0:vw1); (2,0,0,0:vw1); (2,1,0,0:vw1); (2,2,0,0:vw1); (2,3,0,0:vw1); (2,4,0,0:vw1); (2,5,0,0:vw1); (2,0,1,0:vw1); (2,1,1,0:vw1); (2,2,1,0:vw1); (2,3,1,0:vw1); (2,4,1,0:vw1); (2,5,1,0:vw1); (2,0,2,0:vw1); (2,1,2,0:vw1); (2,2,2,0:vw1); (2,3,2,0:vw1); (2,4,2,0:vw1); (2,5,2,0:vw1); (2,0,3,0:vw1); (2,1,3,0:vw1); (2,2,3,0:vw1); (2,3,3,0:vw1); (2,4,3,0:vw1); (2,5,3,0:vw1); (3,0,0,0:vw1); (3,1,0,0:vw1); (3,2,0,0:vw1); (3,3,0,0:vw1); (3,4,0,0:vw1); (3,5,0,0:vw1); (3,0,1,0:vw1); (3,1,1,0:vw1); (3,2,1,0:vw1); (3,3,1,0:vw1); (3,4,1,0:vw1); (3,5,1,0:vw1); (3,0,2,0:vw1); (3,1,2,0:vw1); (3,2,2,0:vw1); (3,3,2,0:vw1); (3,4,2,0:vw1); (3,5,2,0:vw1); (3,0,3,0:vw1); (3,1,3,0:vw1); (3,2,3,0:vw1); (3,3,3,0:vw1); (3,4,3,0:vw1); (3,5,3,0:vw1); (4,0,0,0:vw1); (4,1,0,0:vw1); (4,2,0,0:vw1); (4,3,0,0:vw1); (4,4,0,0:vw1); (4,5,0,0:vw1); (4,0,1,0:vw1); (4,1,1,0:vw1); (4,2,1,0:vw1); (4,3,1,0:vw1); (4,4,1,0:vw1); (4,5,1,0:vw1); (4,0,2,0:vw1); (4,1,2,0:vw1); (4,2,2,0:vw1); (4,3,2,0:vw1); (4,4,2,0:vw1); (4,5,2,0:vw1); (4,0,3,0:vw1); (4,1,3,0:vw1); (4,2,3,0:vw1); (4,3,3,0:vw1); (4,4,3,0:vw1); (4,5,3,0:vw1); (5,0,0,0:vw1); (5,1,0,0:vw1); (5,2,0,0:vw1); (5,3,0,0:vw1); (5,4,0,0:vw1); (5,5,0,0:vw1); (5,0,1,0:vw1); (5,1,1,0:vw1); (5,2,1,0:vw1); (5,3,1,0:vw1); (5,4,1,0:vw1); (5,5,1,0:vw1); (5,0,2,0:vw1); (5,1,2,0:vw1); (5,2,2,0:vw1); (5,3,2,0:vw1); (5,4,2,0:vw1); (5,5,2,0:vw1); (5,0,3,0:vw1); (5,1,3,0:vw1); (5,2,3,0:vw1); (5,3,3,0:vw1); (5,4,3,0:vw1); (5,5,3,0:vw1); (6,0,0,0:vw1); (6,1,0,0:vw1); (6,2,0,0:vw1); (6,3,0,0:vw1); (6,4,0,0:vw1); (6,5,0,0:vw1); (6,0,1,0:vw1); (6,1,1,0:vw1); (6,2,1,0:vw1); (6,3,1,0:vw1); (6,4,1,0:vw1); (6,5,1,0:vw1); (6,0,2,0:vw1); (6,1,2,0:vw1); (6,2,2,0:vw1); (6,3,2,0:vw1); (6,4,2,0:vw1); (6,5,2,0:vw1); (6,0,3,0:vw1); (6,1,3,0:vw1); (6,2,3,0:vw1); (6,3,3,0:vw1); (6,4,3,0:vw1); (6,5,3,0:vw1); (7,0,0,0:vw1); (7,1,0,0:vw1); (7,2,0,0:vw1); (7,3,0,0:vw1); (7,4,0,0:vw1); (7,5,0,0:vw1); (7,0,1,0:vw1); (7,1,1,0:vw1); (7,2,1,0:vw1); (7,3,1,0:vw1); (7,4,1,0:vw1); (7,5,1,0:vw1); (7,0,2,0:vw1); (7,1,2,0:vw1); (7,2,2,0:vw1); (7,3,2,0:vw1); (7,4,2,0:vw1); (7,5,2,0:vw1); (7,0,3,0:vw1); (7,1,3,0:vw1); (7,2,3,0:vw1); (7,3,3,0:vw1); (7,4,3,0:vw1); (7,5,3,0:vw1) */
/******************************************/

/* calc coords, apply mask, and issue loads (if necessary) */
/* (d1,vc1,d0,vc0)=(0,0,0,0) */
/* (d1,vc1,d0,vc0)=(0,0,1,0) */
	;; [unrolled: 1-line block ×192, first 2 shown]
_v_add_lshl_u32 v10, v3, v0, 0x1                   // optSingleColVgpr scaleToBpe: sharedAddrVgpr <- cinRowPtr + coord0, scaled by BPE. BSHERE:coord0=0, coord0Vgpr=0
v_accvgpr_read_b32 v[vgprValuC+12], acc0 // copy acc to vreg[0]
v_accvgpr_read_b32 v[vgprValuC+13], acc4 // copy acc to vreg[1]
v_accvgpr_read_b32 v[vgprValuC+14], acc8 // copy acc to vreg[2]
v_accvgpr_read_b32 v[vgprValuC+15], acc12 // copy acc to vreg[3]
v_accvgpr_read_b32 v[vgprValuC+16], acc16 // copy acc to vreg[4]
v_accvgpr_read_b32 v[vgprValuC+17], acc20 // copy acc to vreg[5]
v_accvgpr_read_b32 v[vgprValuC+18], acc1 // copy acc to vreg[6]
v_accvgpr_read_b32 v[vgprValuC+19], acc5 // copy acc to vreg[7]
v_accvgpr_read_b32 v[vgprValuC+20], acc9 // copy acc to vreg[8]
v_accvgpr_read_b32 v[vgprValuC+21], acc13 // copy acc to vreg[9]
v_accvgpr_read_b32 v[vgprValuC+22], acc17 // copy acc to vreg[10]
v_accvgpr_read_b32 v[vgprValuC+23], acc21 // copy acc to vreg[11]
v_accvgpr_read_b32 v[vgprValuC+24], acc2 // copy acc to vreg[12]
v_accvgpr_read_b32 v[vgprValuC+25], acc6 // copy acc to vreg[13]
v_accvgpr_read_b32 v[vgprValuC+26], acc10 // copy acc to vreg[14]
v_accvgpr_read_b32 v[vgprValuC+27], acc14 // copy acc to vreg[15]
v_accvgpr_read_b32 v[vgprValuC+28], acc18 // copy acc to vreg[16]
v_accvgpr_read_b32 v[vgprValuC+29], acc22 // copy acc to vreg[17]
v_accvgpr_read_b32 v[vgprValuC+30], acc3 // copy acc to vreg[18]
v_accvgpr_read_b32 v[vgprValuC+31], acc7 // copy acc to vreg[19]
v_accvgpr_read_b32 v[vgprValuC+32], acc11 // copy acc to vreg[20]
v_accvgpr_read_b32 v[vgprValuC+33], acc15 // copy acc to vreg[21]
v_accvgpr_read_b32 v[vgprValuC+34], acc19 // copy acc to vreg[22]
v_accvgpr_read_b32 v[vgprValuC+35], acc23 // copy acc to vreg[23]
v_accvgpr_read_b32 v[vgprValuC+36], acc24 // copy acc to vreg[24]
v_accvgpr_read_b32 v[vgprValuC+37], acc28 // copy acc to vreg[25]
v_accvgpr_read_b32 v[vgprValuC+38], acc32 // copy acc to vreg[26]
v_accvgpr_read_b32 v[vgprValuC+39], acc36 // copy acc to vreg[27]
v_accvgpr_read_b32 v[vgprValuC+40], acc40 // copy acc to vreg[28]
v_accvgpr_read_b32 v[vgprValuC+41], acc44 // copy acc to vreg[29]
v_accvgpr_read_b32 v[vgprValuC+42], acc25 // copy acc to vreg[30]
v_accvgpr_read_b32 v[vgprValuC+43], acc29 // copy acc to vreg[31]
v_accvgpr_read_b32 v[vgprValuC+44], acc33 // copy acc to vreg[32]
v_accvgpr_read_b32 v[vgprValuC+45], acc37 // copy acc to vreg[33]
v_accvgpr_read_b32 v[vgprValuC+46], acc41 // copy acc to vreg[34]
v_accvgpr_read_b32 v[vgprValuC+47], acc45 // copy acc to vreg[35]
v_accvgpr_read_b32 v[vgprValuC+48], acc26 // copy acc to vreg[36]
v_accvgpr_read_b32 v[vgprValuC+49], acc30 // copy acc to vreg[37]
v_accvgpr_read_b32 v[vgprValuC+50], acc34 // copy acc to vreg[38]
v_accvgpr_read_b32 v[vgprValuC+51], acc38 // copy acc to vreg[39]
v_accvgpr_read_b32 v[vgprValuC+52], acc42 // copy acc to vreg[40]
v_accvgpr_read_b32 v[vgprValuC+53], acc46 // copy acc to vreg[41]
v_accvgpr_read_b32 v[vgprValuC+54], acc27 // copy acc to vreg[42]
v_accvgpr_read_b32 v[vgprValuC+55], acc31 // copy acc to vreg[43]
v_accvgpr_read_b32 v[vgprValuC+56], acc35 // copy acc to vreg[44]
v_accvgpr_read_b32 v[vgprValuC+57], acc39 // copy acc to vreg[45]
v_accvgpr_read_b32 v[vgprValuC+58], acc43 // copy acc to vreg[46]
v_accvgpr_read_b32 v[vgprValuC+59], acc47 // copy acc to vreg[47]
v_accvgpr_read_b32 v[vgprValuC+60], acc48 // copy acc to vreg[48]
v_accvgpr_read_b32 v[vgprValuC+61], acc52 // copy acc to vreg[49]
v_accvgpr_read_b32 v[vgprValuC+62], acc56 // copy acc to vreg[50]
v_accvgpr_read_b32 v[vgprValuC+63], acc60 // copy acc to vreg[51]
v_accvgpr_read_b32 v[vgprValuC+64], acc64 // copy acc to vreg[52]
v_accvgpr_read_b32 v[vgprValuC+65], acc68 // copy acc to vreg[53]
v_accvgpr_read_b32 v[vgprValuC+66], acc49 // copy acc to vreg[54]
v_accvgpr_read_b32 v[vgprValuC+67], acc53 // copy acc to vreg[55]
v_accvgpr_read_b32 v[vgprValuC+68], acc57 // copy acc to vreg[56]
v_accvgpr_read_b32 v[vgprValuC+69], acc61 // copy acc to vreg[57]
v_accvgpr_read_b32 v[vgprValuC+70], acc65 // copy acc to vreg[58]
v_accvgpr_read_b32 v[vgprValuC+71], acc69 // copy acc to vreg[59]
v_accvgpr_read_b32 v[vgprValuC+72], acc50 // copy acc to vreg[60]
v_accvgpr_read_b32 v[vgprValuC+73], acc54 // copy acc to vreg[61]
v_accvgpr_read_b32 v[vgprValuC+74], acc58 // copy acc to vreg[62]
v_accvgpr_read_b32 v[vgprValuC+75], acc62 // copy acc to vreg[63]
v_accvgpr_read_b32 v[vgprValuC+76], acc66 // copy acc to vreg[64]
v_accvgpr_read_b32 v[vgprValuC+77], acc70 // copy acc to vreg[65]
v_accvgpr_read_b32 v[vgprValuC+78], acc51 // copy acc to vreg[66]
v_accvgpr_read_b32 v[vgprValuC+79], acc55 // copy acc to vreg[67]
v_accvgpr_read_b32 v[vgprValuC+80], acc59 // copy acc to vreg[68]
v_accvgpr_read_b32 v[vgprValuC+81], acc63 // copy acc to vreg[69]
v_accvgpr_read_b32 v[vgprValuC+82], acc67 // copy acc to vreg[70]
v_accvgpr_read_b32 v[vgprValuC+83], acc71 // copy acc to vreg[71]
v_accvgpr_read_b32 v[vgprValuC+84], acc72 // copy acc to vreg[72]
v_accvgpr_read_b32 v[vgprValuC+85], acc76 // copy acc to vreg[73]
v_accvgpr_read_b32 v[vgprValuC+86], acc80 // copy acc to vreg[74]
v_accvgpr_read_b32 v[vgprValuC+87], acc84 // copy acc to vreg[75]
v_accvgpr_read_b32 v[vgprValuC+88], acc88 // copy acc to vreg[76]
v_accvgpr_read_b32 v[vgprValuC+89], acc92 // copy acc to vreg[77]
v_accvgpr_read_b32 v[vgprValuC+90], acc73 // copy acc to vreg[78]
v_accvgpr_read_b32 v[vgprValuC+91], acc77 // copy acc to vreg[79]
v_accvgpr_read_b32 v[vgprValuC+92], acc81 // copy acc to vreg[80]
v_accvgpr_read_b32 v[vgprValuC+93], acc85 // copy acc to vreg[81]
v_accvgpr_read_b32 v[vgprValuC+94], acc89 // copy acc to vreg[82]
v_accvgpr_read_b32 v[vgprValuC+95], acc93 // copy acc to vreg[83]
v_accvgpr_read_b32 v[vgprValuC+96], acc74 // copy acc to vreg[84]
v_accvgpr_read_b32 v[vgprValuC+97], acc78 // copy acc to vreg[85]
v_accvgpr_read_b32 v[vgprValuC+98], acc82 // copy acc to vreg[86]
v_accvgpr_read_b32 v[vgprValuC+99], acc86 // copy acc to vreg[87]
v_accvgpr_read_b32 v[vgprValuC+100], acc90 // copy acc to vreg[88]
v_accvgpr_read_b32 v[vgprValuC+101], acc94 // copy acc to vreg[89]
v_accvgpr_read_b32 v[vgprValuC+102], acc75 // copy acc to vreg[90]
v_accvgpr_read_b32 v[vgprValuC+103], acc79 // copy acc to vreg[91]
v_accvgpr_read_b32 v[vgprValuC+104], acc83 // copy acc to vreg[92]
v_accvgpr_read_b32 v[vgprValuC+105], acc87 // copy acc to vreg[93]
v_accvgpr_read_b32 v[vgprValuC+106], acc91 // copy acc to vreg[94]
v_accvgpr_read_b32 v[vgprValuC+107], acc95 // copy acc to vreg[95]
v_accvgpr_read_b32 v[vgprValuC+108], acc96 // copy acc to vreg[96]
v_accvgpr_read_b32 v[vgprValuC+109], acc100 // copy acc to vreg[97]
v_accvgpr_read_b32 v[vgprValuC+110], acc104 // copy acc to vreg[98]
v_accvgpr_read_b32 v[vgprValuC+111], acc108 // copy acc to vreg[99]
v_accvgpr_read_b32 v[vgprValuC+112], acc112 // copy acc to vreg[100]
v_accvgpr_read_b32 v[vgprValuC+113], acc116 // copy acc to vreg[101]
v_accvgpr_read_b32 v[vgprValuC+114], acc97 // copy acc to vreg[102]
v_accvgpr_read_b32 v[vgprValuC+115], acc101 // copy acc to vreg[103]
v_accvgpr_read_b32 v[vgprValuC+116], acc105 // copy acc to vreg[104]
v_accvgpr_read_b32 v[vgprValuC+117], acc109 // copy acc to vreg[105]
v_accvgpr_read_b32 v[vgprValuC+118], acc113 // copy acc to vreg[106]
v_accvgpr_read_b32 v[vgprValuC+119], acc117 // copy acc to vreg[107]
v_accvgpr_read_b32 v[vgprValuC+120], acc98 // copy acc to vreg[108]
v_accvgpr_read_b32 v[vgprValuC+121], acc102 // copy acc to vreg[109]
v_accvgpr_read_b32 v[vgprValuC+122], acc106 // copy acc to vreg[110]
v_accvgpr_read_b32 v[vgprValuC+123], acc110 // copy acc to vreg[111]
v_accvgpr_read_b32 v[vgprValuC+124], acc114 // copy acc to vreg[112]
v_accvgpr_read_b32 v[vgprValuC+125], acc118 // copy acc to vreg[113]
v_accvgpr_read_b32 v[vgprValuC+126], acc99 // copy acc to vreg[114]
v_accvgpr_read_b32 v[vgprValuC+127], acc103 // copy acc to vreg[115]
v_accvgpr_read_b32 v[vgprValuC+128], acc107 // copy acc to vreg[116]
v_accvgpr_read_b32 v[vgprValuC+129], acc111 // copy acc to vreg[117]
v_accvgpr_read_b32 v[vgprValuC+130], acc115 // copy acc to vreg[118]
v_accvgpr_read_b32 v[vgprValuC+131], acc119 // copy acc to vreg[119]
v_accvgpr_read_b32 v[vgprValuC+132], acc120 // copy acc to vreg[120]
v_accvgpr_read_b32 v[vgprValuC+133], acc124 // copy acc to vreg[121]
v_accvgpr_read_b32 v[vgprValuC+134], acc128 // copy acc to vreg[122]
v_accvgpr_read_b32 v[vgprValuC+135], acc132 // copy acc to vreg[123]
v_accvgpr_read_b32 v[vgprValuC+136], acc136 // copy acc to vreg[124]
v_accvgpr_read_b32 v[vgprValuC+137], acc140 // copy acc to vreg[125]
v_accvgpr_read_b32 v[vgprValuC+138], acc121 // copy acc to vreg[126]
v_accvgpr_read_b32 v[vgprValuC+139], acc125 // copy acc to vreg[127]
v_accvgpr_read_b32 v[vgprValuC+140], acc129 // copy acc to vreg[128]
v_accvgpr_read_b32 v[vgprValuC+141], acc133 // copy acc to vreg[129]
v_accvgpr_read_b32 v[vgprValuC+142], acc137 // copy acc to vreg[130]
v_accvgpr_read_b32 v[vgprValuC+143], acc141 // copy acc to vreg[131]
v_accvgpr_read_b32 v[vgprValuC+144], acc122 // copy acc to vreg[132]
v_accvgpr_read_b32 v[vgprValuC+145], acc126 // copy acc to vreg[133]
v_accvgpr_read_b32 v[vgprValuC+146], acc130 // copy acc to vreg[134]
v_accvgpr_read_b32 v[vgprValuC+147], acc134 // copy acc to vreg[135]
v_accvgpr_read_b32 v[vgprValuC+148], acc138 // copy acc to vreg[136]
v_accvgpr_read_b32 v[vgprValuC+149], acc142 // copy acc to vreg[137]
v_accvgpr_read_b32 v[vgprValuC+150], acc123 // copy acc to vreg[138]
v_accvgpr_read_b32 v[vgprValuC+151], acc127 // copy acc to vreg[139]
v_accvgpr_read_b32 v[vgprValuC+152], acc131 // copy acc to vreg[140]
v_accvgpr_read_b32 v[vgprValuC+153], acc135 // copy acc to vreg[141]
v_accvgpr_read_b32 v[vgprValuC+154], acc139 // copy acc to vreg[142]
v_accvgpr_read_b32 v[vgprValuC+155], acc143 // copy acc to vreg[143]
v_accvgpr_read_b32 v[vgprValuC+156], acc144 // copy acc to vreg[144]
v_accvgpr_read_b32 v[vgprValuC+157], acc148 // copy acc to vreg[145]
v_accvgpr_read_b32 v[vgprValuC+158], acc152 // copy acc to vreg[146]
v_accvgpr_read_b32 v[vgprValuC+159], acc156 // copy acc to vreg[147]
v_accvgpr_read_b32 v[vgprValuC+160], acc160 // copy acc to vreg[148]
v_accvgpr_read_b32 v[vgprValuC+161], acc164 // copy acc to vreg[149]
v_accvgpr_read_b32 v[vgprValuC+162], acc145 // copy acc to vreg[150]
v_accvgpr_read_b32 v[vgprValuC+163], acc149 // copy acc to vreg[151]
v_accvgpr_read_b32 v[vgprValuC+164], acc153 // copy acc to vreg[152]
v_accvgpr_read_b32 v[vgprValuC+165], acc157 // copy acc to vreg[153]
v_accvgpr_read_b32 v[vgprValuC+166], acc161 // copy acc to vreg[154]
v_accvgpr_read_b32 v[vgprValuC+167], acc165 // copy acc to vreg[155]
v_accvgpr_read_b32 v[vgprValuC+168], acc146 // copy acc to vreg[156]
v_accvgpr_read_b32 v[vgprValuC+169], acc150 // copy acc to vreg[157]
v_accvgpr_read_b32 v[vgprValuC+170], acc154 // copy acc to vreg[158]
v_accvgpr_read_b32 v[vgprValuC+171], acc158 // copy acc to vreg[159]
v_accvgpr_read_b32 v[vgprValuC+175], acc162 // copy acc to vreg[160]
v_accvgpr_read_b32 v[vgprValuC+176], acc166 // copy acc to vreg[161]
v_accvgpr_read_b32 v[vgprValuC+177], acc147 // copy acc to vreg[162]
v_accvgpr_read_b32 v[vgprValuC+178], acc151 // copy acc to vreg[163]
v_accvgpr_read_b32 v[vgprValuC+179], acc155 // copy acc to vreg[164]
v_accvgpr_read_b32 v[vgprValuC+180], acc159 // copy acc to vreg[165]
v_accvgpr_read_b32 v[vgprValuC+181], acc163 // copy acc to vreg[166]
v_accvgpr_read_b32 v[vgprValuC+182], acc167 // copy acc to vreg[167]
v_accvgpr_read_b32 v[vgprValuC+183], acc168 // copy acc to vreg[168]
v_accvgpr_read_b32 v[vgprValuC+184], acc172 // copy acc to vreg[169]
v_accvgpr_read_b32 v[vgprValuC+185], acc176 // copy acc to vreg[170]
v_accvgpr_read_b32 v[vgprValuC+186], acc180 // copy acc to vreg[171]
v_accvgpr_read_b32 v[vgprValuC+187], acc184 // copy acc to vreg[172]
v_accvgpr_read_b32 v[vgprValuC+188], acc188 // copy acc to vreg[173]
v_accvgpr_read_b32 v[vgprValuC+189], acc169 // copy acc to vreg[174]
v_accvgpr_read_b32 v[vgprValuC+190], acc173 // copy acc to vreg[175]
v_accvgpr_read_b32 v[vgprValuC+191], acc177 // copy acc to vreg[176]
v_accvgpr_read_b32 v[vgprValuC+192], acc181 // copy acc to vreg[177]
v_accvgpr_read_b32 v[vgprValuC+193], acc185 // copy acc to vreg[178]
v_accvgpr_read_b32 v[vgprValuC+194], acc189 // copy acc to vreg[179]
v_accvgpr_read_b32 v[vgprValuC+195], acc170 // copy acc to vreg[180]
v_accvgpr_read_b32 v[vgprValuC+196], acc174 // copy acc to vreg[181]
v_accvgpr_read_b32 v[vgprValuC+197], acc178 // copy acc to vreg[182]
v_accvgpr_read_b32 v[vgprValuC+198], acc182 // copy acc to vreg[183]
v_accvgpr_read_b32 v[vgprValuC+199], acc186 // copy acc to vreg[184]
v_accvgpr_read_b32 v[vgprValuC+200], acc190 // copy acc to vreg[185]
v_accvgpr_read_b32 v[vgprValuC+201], acc171 // copy acc to vreg[186]
v_accvgpr_read_b32 v[vgprValuC+202], acc175 // copy acc to vreg[187]
v_accvgpr_read_b32 v[vgprValuC+203], acc179 // copy acc to vreg[188]
v_accvgpr_read_b32 v[vgprValuC+204], acc183 // copy acc to vreg[189]
v_accvgpr_read_b32 v[vgprValuC+205], acc187 // copy acc to vreg[190]
v_accvgpr_read_b32 v[vgprValuC+206], acc191 // copy acc to vreg[191]
s_nop 1                                            // 2 wait states required before reading vgpr

/* apply mask, calc new C and issue writes */
v_mov_b32 v7, 0xffff0000                           // mask for pack two bfloat16 element to 32bit
v_mov_b32 v8, 0x7fff0000                           // fp32 Nan
v_mov_b32 v9, 0x7fff                               // rounding bias for bfloat16
v_cmp_u_f32 s[32:33], v[vgprValuC+12], v[vgprValuC+12] // check Nan
v_bfe_u32 v6, v[vgprValuC+12], 16, 1               // Non-Nan case: store lsb of bf16
v_add3_u32 v6, v[vgprValuC+12], v6, v9             // Non-Nan case: add lsb and the increment for rounding
v_cndmask_b32 v[vgprValuC+12], v6, v8, s[32:33]    // 
v_lshrrev_b32 v[vgprValuC+12], 16, v[vgprValuC+12] // convert C to bf16
_buffer_store_b16 v12, v10, s[sgprSrdD:sgprSrdD+3], 0, offen, offset:0,  sc0 sc1 // store D
v_cmp_u_f32 s[32:33], v[vgprValuC+13], v[vgprValuC+13] // check Nan
v_bfe_u32 v6, v[vgprValuC+13], 16, 1               // Non-Nan case: store lsb of bf16
v_add3_u32 v6, v[vgprValuC+13], v6, v9             // Non-Nan case: add lsb and the increment for rounding
v_cndmask_b32 v[vgprValuC+13], v6, v8, s[32:33]    // 
v_lshrrev_b32 v[vgprValuC+13], 16, v[vgprValuC+13] // convert C to bf16
_buffer_store_b16 v13, v10, s[sgprSrdD:sgprSrdD+3], 0, offen, offset:64,  sc0 sc1 // store D
	;; [unrolled: 6-line block ×6, first 2 shown]
v_cmp_u_f32 s[32:33], v[vgprValuC+18], v[vgprValuC+18] // check Nan
v_bfe_u32 v6, v[vgprValuC+18], 16, 1               // Non-Nan case: store lsb of bf16
v_add3_u32 v6, v[vgprValuC+18], v6, v9             // Non-Nan case: add lsb and the increment for rounding
v_cndmask_b32 v[vgprValuC+18], v6, v8, s[32:33]    // 
v_lshrrev_b32 v[vgprValuC+18], 16, v[vgprValuC+18] // convert C to bf16
s_lshl_b32  s32, s[sgprStrideD1J], 1               // incToNextRow: Scale by BPE
s_add_u32  s[sgprSrdD+0], s[sgprSrdD+0], s32       // incToNextRow: gra SRD += inc(lower)
s_addc_u32  s[sgprSrdD+1], s[sgprSrdD+1], 0        // incToNextRow: gra SRD += inc(upper)
_buffer_store_b16 v18, v10, s[sgprSrdD:sgprSrdD+3], 0, offen, offset:0,  sc0 sc1 // store D
v_cmp_u_f32 s[32:33], v[vgprValuC+19], v[vgprValuC+19] // check Nan
v_bfe_u32 v6, v[vgprValuC+19], 16, 1               // Non-Nan case: store lsb of bf16
v_add3_u32 v6, v[vgprValuC+19], v6, v9             // Non-Nan case: add lsb and the increment for rounding
v_cndmask_b32 v[vgprValuC+19], v6, v8, s[32:33]    // 
v_lshrrev_b32 v[vgprValuC+19], 16, v[vgprValuC+19] // convert C to bf16
_buffer_store_b16 v19, v10, s[sgprSrdD:sgprSrdD+3], 0, offen, offset:64,  sc0 sc1 // store D
v_cmp_u_f32 s[32:33], v[vgprValuC+20], v[vgprValuC+20] // check Nan
v_bfe_u32 v6, v[vgprValuC+20], 16, 1               // Non-Nan case: store lsb of bf16
v_add3_u32 v6, v[vgprValuC+20], v6, v9             // Non-Nan case: add lsb and the increment for rounding
v_cndmask_b32 v[vgprValuC+20], v6, v8, s[32:33]    // 
v_lshrrev_b32 v[vgprValuC+20], 16, v[vgprValuC+20] // convert C to bf16
_buffer_store_b16 v20, v10, s[sgprSrdD:sgprSrdD+3], 0, offen, offset:128,  sc0 sc1 // store D
v_cmp_u_f32 s[32:33], v[vgprValuC+21], v[vgprValuC+21] // check Nan
v_bfe_u32 v6, v[vgprValuC+21], 16, 1               // Non-Nan case: store lsb of bf16
v_add3_u32 v6, v[vgprValuC+21], v6, v9             // Non-Nan case: add lsb and the increment for rounding
v_cndmask_b32 v[vgprValuC+21], v6, v8, s[32:33]    // 
v_lshrrev_b32 v[vgprValuC+21], 16, v[vgprValuC+21] // convert C to bf16
_buffer_store_b16 v21, v10, s[sgprSrdD:sgprSrdD+3], 0, offen, offset:192,  sc0 sc1 // store D
v_cmp_u_f32 s[32:33], v[vgprValuC+22], v[vgprValuC+22] // check Nan
v_bfe_u32 v6, v[vgprValuC+22], 16, 1               // Non-Nan case: store lsb of bf16
v_add3_u32 v6, v[vgprValuC+22], v6, v9             // Non-Nan case: add lsb and the increment for rounding
v_cndmask_b32 v[vgprValuC+22], v6, v8, s[32:33]    // 
v_lshrrev_b32 v[vgprValuC+22], 16, v[vgprValuC+22] // convert C to bf16
_buffer_store_b16 v22, v10, s[sgprSrdD:sgprSrdD+3], 0, offen, offset:256,  sc0 sc1 // store D
v_cmp_u_f32 s[32:33], v[vgprValuC+23], v[vgprValuC+23] // check Nan
v_bfe_u32 v6, v[vgprValuC+23], 16, 1               // Non-Nan case: store lsb of bf16
v_add3_u32 v6, v[vgprValuC+23], v6, v9             // Non-Nan case: add lsb and the increment for rounding
v_cndmask_b32 v[vgprValuC+23], v6, v8, s[32:33]    // 
v_lshrrev_b32 v[vgprValuC+23], 16, v[vgprValuC+23] // convert C to bf16
_buffer_store_b16 v23, v10, s[sgprSrdD:sgprSrdD+3], 0, offen, offset:320,  sc0 sc1 // store D
v_cmp_u_f32 s[32:33], v[vgprValuC+24], v[vgprValuC+24] // check Nan
v_bfe_u32 v6, v[vgprValuC+24], 16, 1               // Non-Nan case: store lsb of bf16
v_add3_u32 v6, v[vgprValuC+24], v6, v9             // Non-Nan case: add lsb and the increment for rounding
v_cndmask_b32 v[vgprValuC+24], v6, v8, s[32:33]    // 
v_lshrrev_b32 v[vgprValuC+24], 16, v[vgprValuC+24] // convert C to bf16
s_lshl_b32  s32, s[sgprStrideD1J], 1               // incToNextRow: Scale by BPE
s_add_u32  s[sgprSrdD+0], s[sgprSrdD+0], s32       // incToNextRow: gra SRD += inc(lower)
s_addc_u32  s[sgprSrdD+1], s[sgprSrdD+1], 0        // incToNextRow: gra SRD += inc(upper)
_buffer_store_b16 v24, v10, s[sgprSrdD:sgprSrdD+3], 0, offen, offset:0,  sc0 sc1 // store D
v_cmp_u_f32 s[32:33], v[vgprValuC+25], v[vgprValuC+25] // check Nan
v_bfe_u32 v6, v[vgprValuC+25], 16, 1               // Non-Nan case: store lsb of bf16
v_add3_u32 v6, v[vgprValuC+25], v6, v9             // Non-Nan case: add lsb and the increment for rounding
v_cndmask_b32 v[vgprValuC+25], v6, v8, s[32:33]    // 
v_lshrrev_b32 v[vgprValuC+25], 16, v[vgprValuC+25] // convert C to bf16
_buffer_store_b16 v25, v10, s[sgprSrdD:sgprSrdD+3], 0, offen, offset:64,  sc0 sc1 // store D
v_cmp_u_f32 s[32:33], v[vgprValuC+26], v[vgprValuC+26] // check Nan
v_bfe_u32 v6, v[vgprValuC+26], 16, 1               // Non-Nan case: store lsb of bf16
v_add3_u32 v6, v[vgprValuC+26], v6, v9             // Non-Nan case: add lsb and the increment for rounding
v_cndmask_b32 v[vgprValuC+26], v6, v8, s[32:33]    // 
v_lshrrev_b32 v[vgprValuC+26], 16, v[vgprValuC+26] // convert C to bf16
_buffer_store_b16 v26, v10, s[sgprSrdD:sgprSrdD+3], 0, offen, offset:128,  sc0 sc1 // store D
v_cmp_u_f32 s[32:33], v[vgprValuC+27], v[vgprValuC+27] // check Nan
v_bfe_u32 v6, v[vgprValuC+27], 16, 1               // Non-Nan case: store lsb of bf16
v_add3_u32 v6, v[vgprValuC+27], v6, v9             // Non-Nan case: add lsb and the increment for rounding
v_cndmask_b32 v[vgprValuC+27], v6, v8, s[32:33]    // 
v_lshrrev_b32 v[vgprValuC+27], 16, v[vgprValuC+27] // convert C to bf16
_buffer_store_b16 v27, v10, s[sgprSrdD:sgprSrdD+3], 0, offen, offset:192,  sc0 sc1 // store D
v_cmp_u_f32 s[32:33], v[vgprValuC+28], v[vgprValuC+28] // check Nan
v_bfe_u32 v6, v[vgprValuC+28], 16, 1               // Non-Nan case: store lsb of bf16
v_add3_u32 v6, v[vgprValuC+28], v6, v9             // Non-Nan case: add lsb and the increment for rounding
v_cndmask_b32 v[vgprValuC+28], v6, v8, s[32:33]    // 
v_lshrrev_b32 v[vgprValuC+28], 16, v[vgprValuC+28] // convert C to bf16
_buffer_store_b16 v28, v10, s[sgprSrdD:sgprSrdD+3], 0, offen, offset:256,  sc0 sc1 // store D
v_cmp_u_f32 s[32:33], v[vgprValuC+29], v[vgprValuC+29] // check Nan
v_bfe_u32 v6, v[vgprValuC+29], 16, 1               // Non-Nan case: store lsb of bf16
v_add3_u32 v6, v[vgprValuC+29], v6, v9             // Non-Nan case: add lsb and the increment for rounding
v_cndmask_b32 v[vgprValuC+29], v6, v8, s[32:33]    // 
v_lshrrev_b32 v[vgprValuC+29], 16, v[vgprValuC+29] // convert C to bf16
_buffer_store_b16 v29, v10, s[sgprSrdD:sgprSrdD+3], 0, offen, offset:320,  sc0 sc1 // store D
	;; [unrolled: 39-line block ×3, first 2 shown]
v_cmp_u_f32 s[32:33], v[vgprValuC+36], v[vgprValuC+36] // check Nan
v_bfe_u32 v6, v[vgprValuC+36], 16, 1               // Non-Nan case: store lsb of bf16
v_add3_u32 v6, v[vgprValuC+36], v6, v9             // Non-Nan case: add lsb and the increment for rounding
v_cndmask_b32 v[vgprValuC+36], v6, v8, s[32:33]    // 
v_lshrrev_b32 v[vgprValuC+36], 16, v[vgprValuC+36] // convert C to bf16
s_mul_i32 s32, s[sgprStrideD1J], 58                // scale StrideD *= numRows(29) * bpe
s_add_u32  s[sgprSrdD+0], s[sgprSrdD+0], s32       // incToNextRow: gra SRD += inc(lower)
s_addc_u32  s[sgprSrdD+1], s[sgprSrdD+1], 0        // incToNextRow: gra SRD += inc(upper)
_buffer_store_b16 v36, v10, s[sgprSrdD:sgprSrdD+3], 0, offen, offset:0,  sc0 sc1 // store D
v_cmp_u_f32 s[32:33], v[vgprValuC+37], v[vgprValuC+37] // check Nan
v_bfe_u32 v6, v[vgprValuC+37], 16, 1               // Non-Nan case: store lsb of bf16
v_add3_u32 v6, v[vgprValuC+37], v6, v9             // Non-Nan case: add lsb and the increment for rounding
v_cndmask_b32 v[vgprValuC+37], v6, v8, s[32:33]    // 
v_lshrrev_b32 v[vgprValuC+37], 16, v[vgprValuC+37] // convert C to bf16
_buffer_store_b16 v37, v10, s[sgprSrdD:sgprSrdD+3], 0, offen, offset:64,  sc0 sc1 // store D
v_cmp_u_f32 s[32:33], v[vgprValuC+38], v[vgprValuC+38] // check Nan
v_bfe_u32 v6, v[vgprValuC+38], 16, 1               // Non-Nan case: store lsb of bf16
v_add3_u32 v6, v[vgprValuC+38], v6, v9             // Non-Nan case: add lsb and the increment for rounding
v_cndmask_b32 v[vgprValuC+38], v6, v8, s[32:33]    // 
v_lshrrev_b32 v[vgprValuC+38], 16, v[vgprValuC+38] // convert C to bf16
_buffer_store_b16 v38, v10, s[sgprSrdD:sgprSrdD+3], 0, offen, offset:128,  sc0 sc1 // store D
v_cmp_u_f32 s[32:33], v[vgprValuC+39], v[vgprValuC+39] // check Nan
v_bfe_u32 v6, v[vgprValuC+39], 16, 1               // Non-Nan case: store lsb of bf16
v_add3_u32 v6, v[vgprValuC+39], v6, v9             // Non-Nan case: add lsb and the increment for rounding
v_cndmask_b32 v[vgprValuC+39], v6, v8, s[32:33]    // 
v_lshrrev_b32 v[vgprValuC+39], 16, v[vgprValuC+39] // convert C to bf16
_buffer_store_b16 v39, v10, s[sgprSrdD:sgprSrdD+3], 0, offen, offset:192,  sc0 sc1 // store D
v_cmp_u_f32 s[32:33], v[vgprValuC+40], v[vgprValuC+40] // check Nan
v_bfe_u32 v6, v[vgprValuC+40], 16, 1               // Non-Nan case: store lsb of bf16
v_add3_u32 v6, v[vgprValuC+40], v6, v9             // Non-Nan case: add lsb and the increment for rounding
v_cndmask_b32 v[vgprValuC+40], v6, v8, s[32:33]    // 
v_lshrrev_b32 v[vgprValuC+40], 16, v[vgprValuC+40] // convert C to bf16
_buffer_store_b16 v40, v10, s[sgprSrdD:sgprSrdD+3], 0, offen, offset:256,  sc0 sc1 // store D
v_cmp_u_f32 s[32:33], v[vgprValuC+41], v[vgprValuC+41] // check Nan
v_bfe_u32 v6, v[vgprValuC+41], 16, 1               // Non-Nan case: store lsb of bf16
v_add3_u32 v6, v[vgprValuC+41], v6, v9             // Non-Nan case: add lsb and the increment for rounding
v_cndmask_b32 v[vgprValuC+41], v6, v8, s[32:33]    // 
v_lshrrev_b32 v[vgprValuC+41], 16, v[vgprValuC+41] // convert C to bf16
_buffer_store_b16 v41, v10, s[sgprSrdD:sgprSrdD+3], 0, offen, offset:320,  sc0 sc1 // store D
v_cmp_u_f32 s[32:33], v[vgprValuC+42], v[vgprValuC+42] // check Nan
v_bfe_u32 v6, v[vgprValuC+42], 16, 1               // Non-Nan case: store lsb of bf16
v_add3_u32 v6, v[vgprValuC+42], v6, v9             // Non-Nan case: add lsb and the increment for rounding
v_cndmask_b32 v[vgprValuC+42], v6, v8, s[32:33]    // 
v_lshrrev_b32 v[vgprValuC+42], 16, v[vgprValuC+42] // convert C to bf16
s_lshl_b32  s32, s[sgprStrideD1J], 1               // incToNextRow: Scale by BPE
s_add_u32  s[sgprSrdD+0], s[sgprSrdD+0], s32       // incToNextRow: gra SRD += inc(lower)
s_addc_u32  s[sgprSrdD+1], s[sgprSrdD+1], 0        // incToNextRow: gra SRD += inc(upper)
_buffer_store_b16 v42, v10, s[sgprSrdD:sgprSrdD+3], 0, offen, offset:0,  sc0 sc1 // store D
v_cmp_u_f32 s[32:33], v[vgprValuC+43], v[vgprValuC+43] // check Nan
v_bfe_u32 v6, v[vgprValuC+43], 16, 1               // Non-Nan case: store lsb of bf16
v_add3_u32 v6, v[vgprValuC+43], v6, v9             // Non-Nan case: add lsb and the increment for rounding
v_cndmask_b32 v[vgprValuC+43], v6, v8, s[32:33]    // 
v_lshrrev_b32 v[vgprValuC+43], 16, v[vgprValuC+43] // convert C to bf16
_buffer_store_b16 v43, v10, s[sgprSrdD:sgprSrdD+3], 0, offen, offset:64,  sc0 sc1 // store D
v_cmp_u_f32 s[32:33], v[vgprValuC+44], v[vgprValuC+44] // check Nan
v_bfe_u32 v6, v[vgprValuC+44], 16, 1               // Non-Nan case: store lsb of bf16
v_add3_u32 v6, v[vgprValuC+44], v6, v9             // Non-Nan case: add lsb and the increment for rounding
v_cndmask_b32 v[vgprValuC+44], v6, v8, s[32:33]    // 
v_lshrrev_b32 v[vgprValuC+44], 16, v[vgprValuC+44] // convert C to bf16
_buffer_store_b16 v44, v10, s[sgprSrdD:sgprSrdD+3], 0, offen, offset:128,  sc0 sc1 // store D
v_cmp_u_f32 s[32:33], v[vgprValuC+45], v[vgprValuC+45] // check Nan
v_bfe_u32 v6, v[vgprValuC+45], 16, 1               // Non-Nan case: store lsb of bf16
v_add3_u32 v6, v[vgprValuC+45], v6, v9             // Non-Nan case: add lsb and the increment for rounding
v_cndmask_b32 v[vgprValuC+45], v6, v8, s[32:33]    // 
v_lshrrev_b32 v[vgprValuC+45], 16, v[vgprValuC+45] // convert C to bf16
_buffer_store_b16 v45, v10, s[sgprSrdD:sgprSrdD+3], 0, offen, offset:192,  sc0 sc1 // store D
v_cmp_u_f32 s[32:33], v[vgprValuC+46], v[vgprValuC+46] // check Nan
v_bfe_u32 v6, v[vgprValuC+46], 16, 1               // Non-Nan case: store lsb of bf16
v_add3_u32 v6, v[vgprValuC+46], v6, v9             // Non-Nan case: add lsb and the increment for rounding
v_cndmask_b32 v[vgprValuC+46], v6, v8, s[32:33]    // 
v_lshrrev_b32 v[vgprValuC+46], 16, v[vgprValuC+46] // convert C to bf16
_buffer_store_b16 v46, v10, s[sgprSrdD:sgprSrdD+3], 0, offen, offset:256,  sc0 sc1 // store D
v_cmp_u_f32 s[32:33], v[vgprValuC+47], v[vgprValuC+47] // check Nan
v_bfe_u32 v6, v[vgprValuC+47], 16, 1               // Non-Nan case: store lsb of bf16
v_add3_u32 v6, v[vgprValuC+47], v6, v9             // Non-Nan case: add lsb and the increment for rounding
v_cndmask_b32 v[vgprValuC+47], v6, v8, s[32:33]    // 
v_lshrrev_b32 v[vgprValuC+47], 16, v[vgprValuC+47] // convert C to bf16
_buffer_store_b16 v47, v10, s[sgprSrdD:sgprSrdD+3], 0, offen, offset:320,  sc0 sc1 // store D
v_cmp_u_f32 s[32:33], v[vgprValuC+48], v[vgprValuC+48] // check Nan
v_bfe_u32 v6, v[vgprValuC+48], 16, 1               // Non-Nan case: store lsb of bf16
v_add3_u32 v6, v[vgprValuC+48], v6, v9             // Non-Nan case: add lsb and the increment for rounding
v_cndmask_b32 v[vgprValuC+48], v6, v8, s[32:33]    // 
v_lshrrev_b32 v[vgprValuC+48], 16, v[vgprValuC+48] // convert C to bf16
s_lshl_b32  s32, s[sgprStrideD1J], 1               // incToNextRow: Scale by BPE
	;; [unrolled: 39-line block ×3, first 2 shown]
s_add_u32  s[sgprSrdD+0], s[sgprSrdD+0], s32       // incToNextRow: gra SRD += inc(lower)
s_addc_u32  s[sgprSrdD+1], s[sgprSrdD+1], 0        // incToNextRow: gra SRD += inc(upper)
_buffer_store_b16 v54, v10, s[sgprSrdD:sgprSrdD+3], 0, offen, offset:0,  sc0 sc1 // store D
v_cmp_u_f32 s[32:33], v[vgprValuC+55], v[vgprValuC+55] // check Nan
v_bfe_u32 v6, v[vgprValuC+55], 16, 1               // Non-Nan case: store lsb of bf16
v_add3_u32 v6, v[vgprValuC+55], v6, v9             // Non-Nan case: add lsb and the increment for rounding
v_cndmask_b32 v[vgprValuC+55], v6, v8, s[32:33]    // 
v_lshrrev_b32 v[vgprValuC+55], 16, v[vgprValuC+55] // convert C to bf16
_buffer_store_b16 v55, v10, s[sgprSrdD:sgprSrdD+3], 0, offen, offset:64,  sc0 sc1 // store D
v_cmp_u_f32 s[32:33], v[vgprValuC+56], v[vgprValuC+56] // check Nan
v_bfe_u32 v6, v[vgprValuC+56], 16, 1               // Non-Nan case: store lsb of bf16
v_add3_u32 v6, v[vgprValuC+56], v6, v9             // Non-Nan case: add lsb and the increment for rounding
v_cndmask_b32 v[vgprValuC+56], v6, v8, s[32:33]    // 
v_lshrrev_b32 v[vgprValuC+56], 16, v[vgprValuC+56] // convert C to bf16
	;; [unrolled: 6-line block ×6, first 2 shown]
s_mul_i32 s32, s[sgprStrideD1J], 58                // scale StrideD *= numRows(29) * bpe
s_add_u32  s[sgprSrdD+0], s[sgprSrdD+0], s32       // incToNextRow: gra SRD += inc(lower)
s_addc_u32  s[sgprSrdD+1], s[sgprSrdD+1], 0        // incToNextRow: gra SRD += inc(upper)
_buffer_store_b16 v60, v10, s[sgprSrdD:sgprSrdD+3], 0, offen, offset:0,  sc0 sc1 // store D
v_cmp_u_f32 s[32:33], v[vgprValuC+61], v[vgprValuC+61] // check Nan
v_bfe_u32 v6, v[vgprValuC+61], 16, 1               // Non-Nan case: store lsb of bf16
v_add3_u32 v6, v[vgprValuC+61], v6, v9             // Non-Nan case: add lsb and the increment for rounding
v_cndmask_b32 v[vgprValuC+61], v6, v8, s[32:33]    // 
v_lshrrev_b32 v[vgprValuC+61], 16, v[vgprValuC+61] // convert C to bf16
_buffer_store_b16 v61, v10, s[sgprSrdD:sgprSrdD+3], 0, offen, offset:64,  sc0 sc1 // store D
v_cmp_u_f32 s[32:33], v[vgprValuC+62], v[vgprValuC+62] // check Nan
v_bfe_u32 v6, v[vgprValuC+62], 16, 1               // Non-Nan case: store lsb of bf16
v_add3_u32 v6, v[vgprValuC+62], v6, v9             // Non-Nan case: add lsb and the increment for rounding
v_cndmask_b32 v[vgprValuC+62], v6, v8, s[32:33]    // 
v_lshrrev_b32 v[vgprValuC+62], 16, v[vgprValuC+62] // convert C to bf16
_buffer_store_b16 v62, v10, s[sgprSrdD:sgprSrdD+3], 0, offen, offset:128,  sc0 sc1 // store D
v_cmp_u_f32 s[32:33], v[vgprValuC+63], v[vgprValuC+63] // check Nan
v_bfe_u32 v6, v[vgprValuC+63], 16, 1               // Non-Nan case: store lsb of bf16
v_add3_u32 v6, v[vgprValuC+63], v6, v9             // Non-Nan case: add lsb and the increment for rounding
v_cndmask_b32 v[vgprValuC+63], v6, v8, s[32:33]    // 
v_lshrrev_b32 v[vgprValuC+63], 16, v[vgprValuC+63] // convert C to bf16
_buffer_store_b16 v63, v10, s[sgprSrdD:sgprSrdD+3], 0, offen, offset:192,  sc0 sc1 // store D
v_cmp_u_f32 s[32:33], v[vgprValuC+64], v[vgprValuC+64] // check Nan
v_bfe_u32 v6, v[vgprValuC+64], 16, 1               // Non-Nan case: store lsb of bf16
v_add3_u32 v6, v[vgprValuC+64], v6, v9             // Non-Nan case: add lsb and the increment for rounding
v_cndmask_b32 v[vgprValuC+64], v6, v8, s[32:33]    // 
v_lshrrev_b32 v[vgprValuC+64], 16, v[vgprValuC+64] // convert C to bf16
_buffer_store_b16 v64, v10, s[sgprSrdD:sgprSrdD+3], 0, offen, offset:256,  sc0 sc1 // store D
v_cmp_u_f32 s[32:33], v[vgprValuC+65], v[vgprValuC+65] // check Nan
v_bfe_u32 v6, v[vgprValuC+65], 16, 1               // Non-Nan case: store lsb of bf16
v_add3_u32 v6, v[vgprValuC+65], v6, v9             // Non-Nan case: add lsb and the increment for rounding
v_cndmask_b32 v[vgprValuC+65], v6, v8, s[32:33]    // 
v_lshrrev_b32 v[vgprValuC+65], 16, v[vgprValuC+65] // convert C to bf16
_buffer_store_b16 v65, v10, s[sgprSrdD:sgprSrdD+3], 0, offen, offset:320,  sc0 sc1 // store D
v_cmp_u_f32 s[32:33], v[vgprValuC+66], v[vgprValuC+66] // check Nan
v_bfe_u32 v6, v[vgprValuC+66], 16, 1               // Non-Nan case: store lsb of bf16
v_add3_u32 v6, v[vgprValuC+66], v6, v9             // Non-Nan case: add lsb and the increment for rounding
v_cndmask_b32 v[vgprValuC+66], v6, v8, s[32:33]    // 
v_lshrrev_b32 v[vgprValuC+66], 16, v[vgprValuC+66] // convert C to bf16
s_lshl_b32  s32, s[sgprStrideD1J], 1               // incToNextRow: Scale by BPE
s_add_u32  s[sgprSrdD+0], s[sgprSrdD+0], s32       // incToNextRow: gra SRD += inc(lower)
s_addc_u32  s[sgprSrdD+1], s[sgprSrdD+1], 0        // incToNextRow: gra SRD += inc(upper)
_buffer_store_b16 v66, v10, s[sgprSrdD:sgprSrdD+3], 0, offen, offset:0,  sc0 sc1 // store D
v_cmp_u_f32 s[32:33], v[vgprValuC+67], v[vgprValuC+67] // check Nan
v_bfe_u32 v6, v[vgprValuC+67], 16, 1               // Non-Nan case: store lsb of bf16
v_add3_u32 v6, v[vgprValuC+67], v6, v9             // Non-Nan case: add lsb and the increment for rounding
v_cndmask_b32 v[vgprValuC+67], v6, v8, s[32:33]    // 
v_lshrrev_b32 v[vgprValuC+67], 16, v[vgprValuC+67] // convert C to bf16
_buffer_store_b16 v67, v10, s[sgprSrdD:sgprSrdD+3], 0, offen, offset:64,  sc0 sc1 // store D
v_cmp_u_f32 s[32:33], v[vgprValuC+68], v[vgprValuC+68] // check Nan
v_bfe_u32 v6, v[vgprValuC+68], 16, 1               // Non-Nan case: store lsb of bf16
v_add3_u32 v6, v[vgprValuC+68], v6, v9             // Non-Nan case: add lsb and the increment for rounding
v_cndmask_b32 v[vgprValuC+68], v6, v8, s[32:33]    // 
v_lshrrev_b32 v[vgprValuC+68], 16, v[vgprValuC+68] // convert C to bf16
_buffer_store_b16 v68, v10, s[sgprSrdD:sgprSrdD+3], 0, offen, offset:128,  sc0 sc1 // store D
v_cmp_u_f32 s[32:33], v[vgprValuC+69], v[vgprValuC+69] // check Nan
v_bfe_u32 v6, v[vgprValuC+69], 16, 1               // Non-Nan case: store lsb of bf16
v_add3_u32 v6, v[vgprValuC+69], v6, v9             // Non-Nan case: add lsb and the increment for rounding
v_cndmask_b32 v[vgprValuC+69], v6, v8, s[32:33]    // 
v_lshrrev_b32 v[vgprValuC+69], 16, v[vgprValuC+69] // convert C to bf16
_buffer_store_b16 v69, v10, s[sgprSrdD:sgprSrdD+3], 0, offen, offset:192,  sc0 sc1 // store D
v_cmp_u_f32 s[32:33], v[vgprValuC+70], v[vgprValuC+70] // check Nan
v_bfe_u32 v6, v[vgprValuC+70], 16, 1               // Non-Nan case: store lsb of bf16
v_add3_u32 v6, v[vgprValuC+70], v6, v9             // Non-Nan case: add lsb and the increment for rounding
v_cndmask_b32 v[vgprValuC+70], v6, v8, s[32:33]    // 
v_lshrrev_b32 v[vgprValuC+70], 16, v[vgprValuC+70] // convert C to bf16
_buffer_store_b16 v70, v10, s[sgprSrdD:sgprSrdD+3], 0, offen, offset:256,  sc0 sc1 // store D
v_cmp_u_f32 s[32:33], v[vgprValuC+71], v[vgprValuC+71] // check Nan
v_bfe_u32 v6, v[vgprValuC+71], 16, 1               // Non-Nan case: store lsb of bf16
v_add3_u32 v6, v[vgprValuC+71], v6, v9             // Non-Nan case: add lsb and the increment for rounding
v_cndmask_b32 v[vgprValuC+71], v6, v8, s[32:33]    // 
v_lshrrev_b32 v[vgprValuC+71], 16, v[vgprValuC+71] // convert C to bf16
_buffer_store_b16 v71, v10, s[sgprSrdD:sgprSrdD+3], 0, offen, offset:320,  sc0 sc1 // store D
v_cmp_u_f32 s[32:33], v[vgprValuC+72], v[vgprValuC+72] // check Nan
v_bfe_u32 v6, v[vgprValuC+72], 16, 1               // Non-Nan case: store lsb of bf16
v_add3_u32 v6, v[vgprValuC+72], v6, v9             // Non-Nan case: add lsb and the increment for rounding
v_cndmask_b32 v[vgprValuC+72], v6, v8, s[32:33]    // 
v_lshrrev_b32 v[vgprValuC+72], 16, v[vgprValuC+72] // convert C to bf16
s_lshl_b32  s32, s[sgprStrideD1J], 1               // incToNextRow: Scale by BPE
	;; [unrolled: 39-line block ×3, first 2 shown]
s_add_u32  s[sgprSrdD+0], s[sgprSrdD+0], s32       // incToNextRow: gra SRD += inc(lower)
s_addc_u32  s[sgprSrdD+1], s[sgprSrdD+1], 0        // incToNextRow: gra SRD += inc(upper)
_buffer_store_b16 v78, v10, s[sgprSrdD:sgprSrdD+3], 0, offen, offset:0,  sc0 sc1 // store D
v_cmp_u_f32 s[32:33], v[vgprValuC+79], v[vgprValuC+79] // check Nan
v_bfe_u32 v6, v[vgprValuC+79], 16, 1               // Non-Nan case: store lsb of bf16
v_add3_u32 v6, v[vgprValuC+79], v6, v9             // Non-Nan case: add lsb and the increment for rounding
v_cndmask_b32 v[vgprValuC+79], v6, v8, s[32:33]    // 
v_lshrrev_b32 v[vgprValuC+79], 16, v[vgprValuC+79] // convert C to bf16
_buffer_store_b16 v79, v10, s[sgprSrdD:sgprSrdD+3], 0, offen, offset:64,  sc0 sc1 // store D
v_cmp_u_f32 s[32:33], v[vgprValuC+80], v[vgprValuC+80] // check Nan
v_bfe_u32 v6, v[vgprValuC+80], 16, 1               // Non-Nan case: store lsb of bf16
v_add3_u32 v6, v[vgprValuC+80], v6, v9             // Non-Nan case: add lsb and the increment for rounding
v_cndmask_b32 v[vgprValuC+80], v6, v8, s[32:33]    // 
v_lshrrev_b32 v[vgprValuC+80], 16, v[vgprValuC+80] // convert C to bf16
	;; [unrolled: 6-line block ×6, first 2 shown]
s_mul_i32 s32, s[sgprStrideD1J], 58                // scale StrideD *= numRows(29) * bpe
s_add_u32  s[sgprSrdD+0], s[sgprSrdD+0], s32       // incToNextRow: gra SRD += inc(lower)
s_addc_u32  s[sgprSrdD+1], s[sgprSrdD+1], 0        // incToNextRow: gra SRD += inc(upper)
_buffer_store_b16 v84, v10, s[sgprSrdD:sgprSrdD+3], 0, offen, offset:0,  sc0 sc1 // store D
v_cmp_u_f32 s[32:33], v[vgprValuC+85], v[vgprValuC+85] // check Nan
v_bfe_u32 v6, v[vgprValuC+85], 16, 1               // Non-Nan case: store lsb of bf16
v_add3_u32 v6, v[vgprValuC+85], v6, v9             // Non-Nan case: add lsb and the increment for rounding
v_cndmask_b32 v[vgprValuC+85], v6, v8, s[32:33]    // 
v_lshrrev_b32 v[vgprValuC+85], 16, v[vgprValuC+85] // convert C to bf16
_buffer_store_b16 v85, v10, s[sgprSrdD:sgprSrdD+3], 0, offen, offset:64,  sc0 sc1 // store D
v_cmp_u_f32 s[32:33], v[vgprValuC+86], v[vgprValuC+86] // check Nan
v_bfe_u32 v6, v[vgprValuC+86], 16, 1               // Non-Nan case: store lsb of bf16
v_add3_u32 v6, v[vgprValuC+86], v6, v9             // Non-Nan case: add lsb and the increment for rounding
v_cndmask_b32 v[vgprValuC+86], v6, v8, s[32:33]    // 
v_lshrrev_b32 v[vgprValuC+86], 16, v[vgprValuC+86] // convert C to bf16
	;; [unrolled: 6-line block ×6, first 2 shown]
s_lshl_b32  s32, s[sgprStrideD1J], 1               // incToNextRow: Scale by BPE
s_add_u32  s[sgprSrdD+0], s[sgprSrdD+0], s32       // incToNextRow: gra SRD += inc(lower)
s_addc_u32  s[sgprSrdD+1], s[sgprSrdD+1], 0        // incToNextRow: gra SRD += inc(upper)
_buffer_store_b16 v90, v10, s[sgprSrdD:sgprSrdD+3], 0, offen, offset:0,  sc0 sc1 // store D
v_cmp_u_f32 s[32:33], v[vgprValuC+91], v[vgprValuC+91] // check Nan
v_bfe_u32 v6, v[vgprValuC+91], 16, 1               // Non-Nan case: store lsb of bf16
v_add3_u32 v6, v[vgprValuC+91], v6, v9             // Non-Nan case: add lsb and the increment for rounding
v_cndmask_b32 v[vgprValuC+91], v6, v8, s[32:33]    // 
v_lshrrev_b32 v[vgprValuC+91], 16, v[vgprValuC+91] // convert C to bf16
_buffer_store_b16 v91, v10, s[sgprSrdD:sgprSrdD+3], 0, offen, offset:64,  sc0 sc1 // store D
v_cmp_u_f32 s[32:33], v[vgprValuC+92], v[vgprValuC+92] // check Nan
v_bfe_u32 v6, v[vgprValuC+92], 16, 1               // Non-Nan case: store lsb of bf16
v_add3_u32 v6, v[vgprValuC+92], v6, v9             // Non-Nan case: add lsb and the increment for rounding
v_cndmask_b32 v[vgprValuC+92], v6, v8, s[32:33]    // 
v_lshrrev_b32 v[vgprValuC+92], 16, v[vgprValuC+92] // convert C to bf16
	;; [unrolled: 6-line block ×6, first 2 shown]
s_lshl_b32  s32, s[sgprStrideD1J], 1               // incToNextRow: Scale by BPE
s_add_u32  s[sgprSrdD+0], s[sgprSrdD+0], s32       // incToNextRow: gra SRD += inc(lower)
s_addc_u32  s[sgprSrdD+1], s[sgprSrdD+1], 0        // incToNextRow: gra SRD += inc(upper)
_buffer_store_b16 v96, v10, s[sgprSrdD:sgprSrdD+3], 0, offen, offset:0,  sc0 sc1 // store D
v_cmp_u_f32 s[32:33], v[vgprValuC+97], v[vgprValuC+97] // check Nan
v_bfe_u32 v6, v[vgprValuC+97], 16, 1               // Non-Nan case: store lsb of bf16
v_add3_u32 v6, v[vgprValuC+97], v6, v9             // Non-Nan case: add lsb and the increment for rounding
v_cndmask_b32 v[vgprValuC+97], v6, v8, s[32:33]    // 
v_lshrrev_b32 v[vgprValuC+97], 16, v[vgprValuC+97] // convert C to bf16
_buffer_store_b16 v97, v10, s[sgprSrdD:sgprSrdD+3], 0, offen, offset:64,  sc0 sc1 // store D
v_cmp_u_f32 s[32:33], v[vgprValuC+98], v[vgprValuC+98] // check Nan
v_bfe_u32 v6, v[vgprValuC+98], 16, 1               // Non-Nan case: store lsb of bf16
v_add3_u32 v6, v[vgprValuC+98], v6, v9             // Non-Nan case: add lsb and the increment for rounding
v_cndmask_b32 v[vgprValuC+98], v6, v8, s[32:33]    // 
v_lshrrev_b32 v[vgprValuC+98], 16, v[vgprValuC+98] // convert C to bf16
	;; [unrolled: 6-line block ×3, first 2 shown]
_buffer_store_b16 v99, v10, s[sgprSrdD:sgprSrdD+3], 0, offen, offset:192,  sc0 sc1 // store D
v_cmp_u_f32 s[32:33], v[vgprValuC+100], v[vgprValuC+100] // check Nan
v_bfe_u32 v6, v[vgprValuC+100], 16, 1              // Non-Nan case: store lsb of bf16
v_add3_u32 v6, v[vgprValuC+100], v6, v9            // Non-Nan case: add lsb and the increment for rounding
v_cndmask_b32 v[vgprValuC+100], v6, v8, s[32:33]   // 
v_lshrrev_b32 v[vgprValuC+100], 16, v[vgprValuC+100] // convert C to bf16
_buffer_store_b16 v100, v10, s[sgprSrdD:sgprSrdD+3], 0, offen, offset:256,  sc0 sc1 // store D
v_cmp_u_f32 s[32:33], v[vgprValuC+101], v[vgprValuC+101] // check Nan
v_bfe_u32 v6, v[vgprValuC+101], 16, 1              // Non-Nan case: store lsb of bf16
v_add3_u32 v6, v[vgprValuC+101], v6, v9            // Non-Nan case: add lsb and the increment for rounding
v_cndmask_b32 v[vgprValuC+101], v6, v8, s[32:33]   // 
v_lshrrev_b32 v[vgprValuC+101], 16, v[vgprValuC+101] // convert C to bf16
	;; [unrolled: 6-line block ×3, first 2 shown]
s_lshl_b32  s32, s[sgprStrideD1J], 1               // incToNextRow: Scale by BPE
s_add_u32  s[sgprSrdD+0], s[sgprSrdD+0], s32       // incToNextRow: gra SRD += inc(lower)
s_addc_u32  s[sgprSrdD+1], s[sgprSrdD+1], 0        // incToNextRow: gra SRD += inc(upper)
_buffer_store_b16 v102, v10, s[sgprSrdD:sgprSrdD+3], 0, offen, offset:0,  sc0 sc1 // store D
v_cmp_u_f32 s[32:33], v[vgprValuC+103], v[vgprValuC+103] // check Nan
v_bfe_u32 v6, v[vgprValuC+103], 16, 1              // Non-Nan case: store lsb of bf16
v_add3_u32 v6, v[vgprValuC+103], v6, v9            // Non-Nan case: add lsb and the increment for rounding
v_cndmask_b32 v[vgprValuC+103], v6, v8, s[32:33]   // 
v_lshrrev_b32 v[vgprValuC+103], 16, v[vgprValuC+103] // convert C to bf16
_buffer_store_b16 v103, v10, s[sgprSrdD:sgprSrdD+3], 0, offen, offset:64,  sc0 sc1 // store D
v_cmp_u_f32 s[32:33], v[vgprValuC+104], v[vgprValuC+104] // check Nan
v_bfe_u32 v6, v[vgprValuC+104], 16, 1              // Non-Nan case: store lsb of bf16
v_add3_u32 v6, v[vgprValuC+104], v6, v9            // Non-Nan case: add lsb and the increment for rounding
v_cndmask_b32 v[vgprValuC+104], v6, v8, s[32:33]   // 
v_lshrrev_b32 v[vgprValuC+104], 16, v[vgprValuC+104] // convert C to bf16
	;; [unrolled: 6-line block ×6, first 2 shown]
s_mul_i32 s32, s[sgprStrideD1J], 58                // scale StrideD *= numRows(29) * bpe
s_add_u32  s[sgprSrdD+0], s[sgprSrdD+0], s32       // incToNextRow: gra SRD += inc(lower)
s_addc_u32  s[sgprSrdD+1], s[sgprSrdD+1], 0        // incToNextRow: gra SRD += inc(upper)
_buffer_store_b16 v108, v10, s[sgprSrdD:sgprSrdD+3], 0, offen, offset:0,  sc0 sc1 // store D
v_cmp_u_f32 s[32:33], v[vgprValuC+109], v[vgprValuC+109] // check Nan
v_bfe_u32 v6, v[vgprValuC+109], 16, 1              // Non-Nan case: store lsb of bf16
v_add3_u32 v6, v[vgprValuC+109], v6, v9            // Non-Nan case: add lsb and the increment for rounding
v_cndmask_b32 v[vgprValuC+109], v6, v8, s[32:33]   // 
v_lshrrev_b32 v[vgprValuC+109], 16, v[vgprValuC+109] // convert C to bf16
_buffer_store_b16 v109, v10, s[sgprSrdD:sgprSrdD+3], 0, offen, offset:64,  sc0 sc1 // store D
v_cmp_u_f32 s[32:33], v[vgprValuC+110], v[vgprValuC+110] // check Nan
v_bfe_u32 v6, v[vgprValuC+110], 16, 1              // Non-Nan case: store lsb of bf16
v_add3_u32 v6, v[vgprValuC+110], v6, v9            // Non-Nan case: add lsb and the increment for rounding
v_cndmask_b32 v[vgprValuC+110], v6, v8, s[32:33]   // 
v_lshrrev_b32 v[vgprValuC+110], 16, v[vgprValuC+110] // convert C to bf16
_buffer_store_b16 v110, v10, s[sgprSrdD:sgprSrdD+3], 0, offen, offset:128,  sc0 sc1 // store D
v_cmp_u_f32 s[32:33], v[vgprValuC+111], v[vgprValuC+111] // check Nan
v_bfe_u32 v6, v[vgprValuC+111], 16, 1              // Non-Nan case: store lsb of bf16
v_add3_u32 v6, v[vgprValuC+111], v6, v9            // Non-Nan case: add lsb and the increment for rounding
v_cndmask_b32 v[vgprValuC+111], v6, v8, s[32:33]   // 
v_lshrrev_b32 v[vgprValuC+111], 16, v[vgprValuC+111] // convert C to bf16
_buffer_store_b16 v111, v10, s[sgprSrdD:sgprSrdD+3], 0, offen, offset:192,  sc0 sc1 // store D
v_cmp_u_f32 s[32:33], v[vgprValuC+112], v[vgprValuC+112] // check Nan
v_bfe_u32 v6, v[vgprValuC+112], 16, 1              // Non-Nan case: store lsb of bf16
v_add3_u32 v6, v[vgprValuC+112], v6, v9            // Non-Nan case: add lsb and the increment for rounding
v_cndmask_b32 v[vgprValuC+112], v6, v8, s[32:33]   // 
v_lshrrev_b32 v[vgprValuC+112], 16, v[vgprValuC+112] // convert C to bf16
_buffer_store_b16 v112, v10, s[sgprSrdD:sgprSrdD+3], 0, offen, offset:256,  sc0 sc1 // store D
v_cmp_u_f32 s[32:33], v[vgprValuC+113], v[vgprValuC+113] // check Nan
v_bfe_u32 v6, v[vgprValuC+113], 16, 1              // Non-Nan case: store lsb of bf16
v_add3_u32 v6, v[vgprValuC+113], v6, v9            // Non-Nan case: add lsb and the increment for rounding
v_cndmask_b32 v[vgprValuC+113], v6, v8, s[32:33]   // 
v_lshrrev_b32 v[vgprValuC+113], 16, v[vgprValuC+113] // convert C to bf16
_buffer_store_b16 v113, v10, s[sgprSrdD:sgprSrdD+3], 0, offen, offset:320,  sc0 sc1 // store D
v_cmp_u_f32 s[32:33], v[vgprValuC+114], v[vgprValuC+114] // check Nan
v_bfe_u32 v6, v[vgprValuC+114], 16, 1              // Non-Nan case: store lsb of bf16
v_add3_u32 v6, v[vgprValuC+114], v6, v9            // Non-Nan case: add lsb and the increment for rounding
v_cndmask_b32 v[vgprValuC+114], v6, v8, s[32:33]   // 
v_lshrrev_b32 v[vgprValuC+114], 16, v[vgprValuC+114] // convert C to bf16
s_lshl_b32  s32, s[sgprStrideD1J], 1               // incToNextRow: Scale by BPE
s_add_u32  s[sgprSrdD+0], s[sgprSrdD+0], s32       // incToNextRow: gra SRD += inc(lower)
s_addc_u32  s[sgprSrdD+1], s[sgprSrdD+1], 0        // incToNextRow: gra SRD += inc(upper)
_buffer_store_b16 v114, v10, s[sgprSrdD:sgprSrdD+3], 0, offen, offset:0,  sc0 sc1 // store D
v_cmp_u_f32 s[32:33], v[vgprValuC+115], v[vgprValuC+115] // check Nan
v_bfe_u32 v6, v[vgprValuC+115], 16, 1              // Non-Nan case: store lsb of bf16
v_add3_u32 v6, v[vgprValuC+115], v6, v9            // Non-Nan case: add lsb and the increment for rounding
v_cndmask_b32 v[vgprValuC+115], v6, v8, s[32:33]   // 
v_lshrrev_b32 v[vgprValuC+115], 16, v[vgprValuC+115] // convert C to bf16
_buffer_store_b16 v115, v10, s[sgprSrdD:sgprSrdD+3], 0, offen, offset:64,  sc0 sc1 // store D
v_cmp_u_f32 s[32:33], v[vgprValuC+116], v[vgprValuC+116] // check Nan
v_bfe_u32 v6, v[vgprValuC+116], 16, 1              // Non-Nan case: store lsb of bf16
v_add3_u32 v6, v[vgprValuC+116], v6, v9            // Non-Nan case: add lsb and the increment for rounding
v_cndmask_b32 v[vgprValuC+116], v6, v8, s[32:33]   // 
v_lshrrev_b32 v[vgprValuC+116], 16, v[vgprValuC+116] // convert C to bf16
_buffer_store_b16 v116, v10, s[sgprSrdD:sgprSrdD+3], 0, offen, offset:128,  sc0 sc1 // store D
v_cmp_u_f32 s[32:33], v[vgprValuC+117], v[vgprValuC+117] // check Nan
v_bfe_u32 v6, v[vgprValuC+117], 16, 1              // Non-Nan case: store lsb of bf16
v_add3_u32 v6, v[vgprValuC+117], v6, v9            // Non-Nan case: add lsb and the increment for rounding
v_cndmask_b32 v[vgprValuC+117], v6, v8, s[32:33]   // 
v_lshrrev_b32 v[vgprValuC+117], 16, v[vgprValuC+117] // convert C to bf16
_buffer_store_b16 v117, v10, s[sgprSrdD:sgprSrdD+3], 0, offen, offset:192,  sc0 sc1 // store D
v_cmp_u_f32 s[32:33], v[vgprValuC+118], v[vgprValuC+118] // check Nan
v_bfe_u32 v6, v[vgprValuC+118], 16, 1              // Non-Nan case: store lsb of bf16
v_add3_u32 v6, v[vgprValuC+118], v6, v9            // Non-Nan case: add lsb and the increment for rounding
v_cndmask_b32 v[vgprValuC+118], v6, v8, s[32:33]   // 
v_lshrrev_b32 v[vgprValuC+118], 16, v[vgprValuC+118] // convert C to bf16
_buffer_store_b16 v118, v10, s[sgprSrdD:sgprSrdD+3], 0, offen, offset:256,  sc0 sc1 // store D
v_cmp_u_f32 s[32:33], v[vgprValuC+119], v[vgprValuC+119] // check Nan
v_bfe_u32 v6, v[vgprValuC+119], 16, 1              // Non-Nan case: store lsb of bf16
v_add3_u32 v6, v[vgprValuC+119], v6, v9            // Non-Nan case: add lsb and the increment for rounding
v_cndmask_b32 v[vgprValuC+119], v6, v8, s[32:33]   // 
v_lshrrev_b32 v[vgprValuC+119], 16, v[vgprValuC+119] // convert C to bf16
_buffer_store_b16 v119, v10, s[sgprSrdD:sgprSrdD+3], 0, offen, offset:320,  sc0 sc1 // store D
v_cmp_u_f32 s[32:33], v[vgprValuC+120], v[vgprValuC+120] // check Nan
v_bfe_u32 v6, v[vgprValuC+120], 16, 1              // Non-Nan case: store lsb of bf16
v_add3_u32 v6, v[vgprValuC+120], v6, v9            // Non-Nan case: add lsb and the increment for rounding
v_cndmask_b32 v[vgprValuC+120], v6, v8, s[32:33]   // 
v_lshrrev_b32 v[vgprValuC+120], 16, v[vgprValuC+120] // convert C to bf16
s_lshl_b32  s32, s[sgprStrideD1J], 1               // incToNextRow: Scale by BPE
	;; [unrolled: 39-line block ×3, first 2 shown]
s_add_u32  s[sgprSrdD+0], s[sgprSrdD+0], s32       // incToNextRow: gra SRD += inc(lower)
s_addc_u32  s[sgprSrdD+1], s[sgprSrdD+1], 0        // incToNextRow: gra SRD += inc(upper)
_buffer_store_b16 v126, v10, s[sgprSrdD:sgprSrdD+3], 0, offen, offset:0,  sc0 sc1 // store D
v_cmp_u_f32 s[32:33], v[vgprValuC+127], v[vgprValuC+127] // check Nan
v_bfe_u32 v6, v[vgprValuC+127], 16, 1              // Non-Nan case: store lsb of bf16
v_add3_u32 v6, v[vgprValuC+127], v6, v9            // Non-Nan case: add lsb and the increment for rounding
v_cndmask_b32 v[vgprValuC+127], v6, v8, s[32:33]   // 
v_lshrrev_b32 v[vgprValuC+127], 16, v[vgprValuC+127] // convert C to bf16
_buffer_store_b16 v127, v10, s[sgprSrdD:sgprSrdD+3], 0, offen, offset:64,  sc0 sc1 // store D
v_cmp_u_f32 s[32:33], v[vgprValuC+128], v[vgprValuC+128] // check Nan
v_bfe_u32 v6, v[vgprValuC+128], 16, 1              // Non-Nan case: store lsb of bf16
v_add3_u32 v6, v[vgprValuC+128], v6, v9            // Non-Nan case: add lsb and the increment for rounding
v_cndmask_b32 v[vgprValuC+128], v6, v8, s[32:33]   // 
v_lshrrev_b32 v[vgprValuC+128], 16, v[vgprValuC+128] // convert C to bf16
_buffer_store_b16 v128, v10, s[sgprSrdD:sgprSrdD+3], 0, offen, offset:128,  sc0 sc1 // store D
v_cmp_u_f32 s[32:33], v[vgprValuC+129], v[vgprValuC+129] // check Nan
v_bfe_u32 v6, v[vgprValuC+129], 16, 1              // Non-Nan case: store lsb of bf16
v_add3_u32 v6, v[vgprValuC+129], v6, v9            // Non-Nan case: add lsb and the increment for rounding
v_cndmask_b32 v[vgprValuC+129], v6, v8, s[32:33]   // 
v_lshrrev_b32 v[vgprValuC+129], 16, v[vgprValuC+129] // convert C to bf16
_buffer_store_b16 v129, v10, s[sgprSrdD:sgprSrdD+3], 0, offen, offset:192,  sc0 sc1 // store D
v_cmp_u_f32 s[32:33], v[vgprValuC+130], v[vgprValuC+130] // check Nan
v_bfe_u32 v6, v[vgprValuC+130], 16, 1              // Non-Nan case: store lsb of bf16
v_add3_u32 v6, v[vgprValuC+130], v6, v9            // Non-Nan case: add lsb and the increment for rounding
v_cndmask_b32 v[vgprValuC+130], v6, v8, s[32:33]   // 
v_lshrrev_b32 v[vgprValuC+130], 16, v[vgprValuC+130] // convert C to bf16
_buffer_store_b16 v130, v10, s[sgprSrdD:sgprSrdD+3], 0, offen, offset:256,  sc0 sc1 // store D
v_cmp_u_f32 s[32:33], v[vgprValuC+131], v[vgprValuC+131] // check Nan
v_bfe_u32 v6, v[vgprValuC+131], 16, 1              // Non-Nan case: store lsb of bf16
v_add3_u32 v6, v[vgprValuC+131], v6, v9            // Non-Nan case: add lsb and the increment for rounding
v_cndmask_b32 v[vgprValuC+131], v6, v8, s[32:33]   // 
v_lshrrev_b32 v[vgprValuC+131], 16, v[vgprValuC+131] // convert C to bf16
_buffer_store_b16 v131, v10, s[sgprSrdD:sgprSrdD+3], 0, offen, offset:320,  sc0 sc1 // store D
v_cmp_u_f32 s[32:33], v[vgprValuC+132], v[vgprValuC+132] // check Nan
v_bfe_u32 v6, v[vgprValuC+132], 16, 1              // Non-Nan case: store lsb of bf16
v_add3_u32 v6, v[vgprValuC+132], v6, v9            // Non-Nan case: add lsb and the increment for rounding
v_cndmask_b32 v[vgprValuC+132], v6, v8, s[32:33]   // 
v_lshrrev_b32 v[vgprValuC+132], 16, v[vgprValuC+132] // convert C to bf16
s_mul_i32 s32, s[sgprStrideD1J], 58                // scale StrideD *= numRows(29) * bpe
s_add_u32  s[sgprSrdD+0], s[sgprSrdD+0], s32       // incToNextRow: gra SRD += inc(lower)
s_addc_u32  s[sgprSrdD+1], s[sgprSrdD+1], 0        // incToNextRow: gra SRD += inc(upper)
_buffer_store_b16 v132, v10, s[sgprSrdD:sgprSrdD+3], 0, offen, offset:0,  sc0 sc1 // store D
v_cmp_u_f32 s[32:33], v[vgprValuC+133], v[vgprValuC+133] // check Nan
v_bfe_u32 v6, v[vgprValuC+133], 16, 1              // Non-Nan case: store lsb of bf16
v_add3_u32 v6, v[vgprValuC+133], v6, v9            // Non-Nan case: add lsb and the increment for rounding
v_cndmask_b32 v[vgprValuC+133], v6, v8, s[32:33]   // 
v_lshrrev_b32 v[vgprValuC+133], 16, v[vgprValuC+133] // convert C to bf16
_buffer_store_b16 v133, v10, s[sgprSrdD:sgprSrdD+3], 0, offen, offset:64,  sc0 sc1 // store D
v_cmp_u_f32 s[32:33], v[vgprValuC+134], v[vgprValuC+134] // check Nan
v_bfe_u32 v6, v[vgprValuC+134], 16, 1              // Non-Nan case: store lsb of bf16
v_add3_u32 v6, v[vgprValuC+134], v6, v9            // Non-Nan case: add lsb and the increment for rounding
v_cndmask_b32 v[vgprValuC+134], v6, v8, s[32:33]   // 
v_lshrrev_b32 v[vgprValuC+134], 16, v[vgprValuC+134] // convert C to bf16
_buffer_store_b16 v134, v10, s[sgprSrdD:sgprSrdD+3], 0, offen, offset:128,  sc0 sc1 // store D
v_cmp_u_f32 s[32:33], v[vgprValuC+135], v[vgprValuC+135] // check Nan
v_bfe_u32 v6, v[vgprValuC+135], 16, 1              // Non-Nan case: store lsb of bf16
v_add3_u32 v6, v[vgprValuC+135], v6, v9            // Non-Nan case: add lsb and the increment for rounding
v_cndmask_b32 v[vgprValuC+135], v6, v8, s[32:33]   // 
v_lshrrev_b32 v[vgprValuC+135], 16, v[vgprValuC+135] // convert C to bf16
_buffer_store_b16 v135, v10, s[sgprSrdD:sgprSrdD+3], 0, offen, offset:192,  sc0 sc1 // store D
v_cmp_u_f32 s[32:33], v[vgprValuC+136], v[vgprValuC+136] // check Nan
v_bfe_u32 v6, v[vgprValuC+136], 16, 1              // Non-Nan case: store lsb of bf16
v_add3_u32 v6, v[vgprValuC+136], v6, v9            // Non-Nan case: add lsb and the increment for rounding
v_cndmask_b32 v[vgprValuC+136], v6, v8, s[32:33]   // 
v_lshrrev_b32 v[vgprValuC+136], 16, v[vgprValuC+136] // convert C to bf16
_buffer_store_b16 v136, v10, s[sgprSrdD:sgprSrdD+3], 0, offen, offset:256,  sc0 sc1 // store D
v_cmp_u_f32 s[32:33], v[vgprValuC+137], v[vgprValuC+137] // check Nan
v_bfe_u32 v6, v[vgprValuC+137], 16, 1              // Non-Nan case: store lsb of bf16
v_add3_u32 v6, v[vgprValuC+137], v6, v9            // Non-Nan case: add lsb and the increment for rounding
v_cndmask_b32 v[vgprValuC+137], v6, v8, s[32:33]   // 
v_lshrrev_b32 v[vgprValuC+137], 16, v[vgprValuC+137] // convert C to bf16
_buffer_store_b16 v137, v10, s[sgprSrdD:sgprSrdD+3], 0, offen, offset:320,  sc0 sc1 // store D
v_cmp_u_f32 s[32:33], v[vgprValuC+138], v[vgprValuC+138] // check Nan
v_bfe_u32 v6, v[vgprValuC+138], 16, 1              // Non-Nan case: store lsb of bf16
v_add3_u32 v6, v[vgprValuC+138], v6, v9            // Non-Nan case: add lsb and the increment for rounding
v_cndmask_b32 v[vgprValuC+138], v6, v8, s[32:33]   // 
v_lshrrev_b32 v[vgprValuC+138], 16, v[vgprValuC+138] // convert C to bf16
s_lshl_b32  s32, s[sgprStrideD1J], 1               // incToNextRow: Scale by BPE
s_add_u32  s[sgprSrdD+0], s[sgprSrdD+0], s32       // incToNextRow: gra SRD += inc(lower)
s_addc_u32  s[sgprSrdD+1], s[sgprSrdD+1], 0        // incToNextRow: gra SRD += inc(upper)
_buffer_store_b16 v138, v10, s[sgprSrdD:sgprSrdD+3], 0, offen, offset:0,  sc0 sc1 // store D
v_cmp_u_f32 s[32:33], v[vgprValuC+139], v[vgprValuC+139] // check Nan
v_bfe_u32 v6, v[vgprValuC+139], 16, 1              // Non-Nan case: store lsb of bf16
v_add3_u32 v6, v[vgprValuC+139], v6, v9            // Non-Nan case: add lsb and the increment for rounding
v_cndmask_b32 v[vgprValuC+139], v6, v8, s[32:33]   // 
v_lshrrev_b32 v[vgprValuC+139], 16, v[vgprValuC+139] // convert C to bf16
_buffer_store_b16 v139, v10, s[sgprSrdD:sgprSrdD+3], 0, offen, offset:64,  sc0 sc1 // store D
v_cmp_u_f32 s[32:33], v[vgprValuC+140], v[vgprValuC+140] // check Nan
v_bfe_u32 v6, v[vgprValuC+140], 16, 1              // Non-Nan case: store lsb of bf16
v_add3_u32 v6, v[vgprValuC+140], v6, v9            // Non-Nan case: add lsb and the increment for rounding
v_cndmask_b32 v[vgprValuC+140], v6, v8, s[32:33]   // 
v_lshrrev_b32 v[vgprValuC+140], 16, v[vgprValuC+140] // convert C to bf16
_buffer_store_b16 v140, v10, s[sgprSrdD:sgprSrdD+3], 0, offen, offset:128,  sc0 sc1 // store D
v_cmp_u_f32 s[32:33], v[vgprValuC+141], v[vgprValuC+141] // check Nan
v_bfe_u32 v6, v[vgprValuC+141], 16, 1              // Non-Nan case: store lsb of bf16
v_add3_u32 v6, v[vgprValuC+141], v6, v9            // Non-Nan case: add lsb and the increment for rounding
v_cndmask_b32 v[vgprValuC+141], v6, v8, s[32:33]   // 
v_lshrrev_b32 v[vgprValuC+141], 16, v[vgprValuC+141] // convert C to bf16
_buffer_store_b16 v141, v10, s[sgprSrdD:sgprSrdD+3], 0, offen, offset:192,  sc0 sc1 // store D
v_cmp_u_f32 s[32:33], v[vgprValuC+142], v[vgprValuC+142] // check Nan
v_bfe_u32 v6, v[vgprValuC+142], 16, 1              // Non-Nan case: store lsb of bf16
v_add3_u32 v6, v[vgprValuC+142], v6, v9            // Non-Nan case: add lsb and the increment for rounding
v_cndmask_b32 v[vgprValuC+142], v6, v8, s[32:33]   // 
v_lshrrev_b32 v[vgprValuC+142], 16, v[vgprValuC+142] // convert C to bf16
_buffer_store_b16 v142, v10, s[sgprSrdD:sgprSrdD+3], 0, offen, offset:256,  sc0 sc1 // store D
v_cmp_u_f32 s[32:33], v[vgprValuC+143], v[vgprValuC+143] // check Nan
v_bfe_u32 v6, v[vgprValuC+143], 16, 1              // Non-Nan case: store lsb of bf16
v_add3_u32 v6, v[vgprValuC+143], v6, v9            // Non-Nan case: add lsb and the increment for rounding
v_cndmask_b32 v[vgprValuC+143], v6, v8, s[32:33]   // 
v_lshrrev_b32 v[vgprValuC+143], 16, v[vgprValuC+143] // convert C to bf16
_buffer_store_b16 v143, v10, s[sgprSrdD:sgprSrdD+3], 0, offen, offset:320,  sc0 sc1 // store D
v_cmp_u_f32 s[32:33], v[vgprValuC+144], v[vgprValuC+144] // check Nan
v_bfe_u32 v6, v[vgprValuC+144], 16, 1              // Non-Nan case: store lsb of bf16
v_add3_u32 v6, v[vgprValuC+144], v6, v9            // Non-Nan case: add lsb and the increment for rounding
v_cndmask_b32 v[vgprValuC+144], v6, v8, s[32:33]   // 
v_lshrrev_b32 v[vgprValuC+144], 16, v[vgprValuC+144] // convert C to bf16
s_lshl_b32  s32, s[sgprStrideD1J], 1               // incToNextRow: Scale by BPE
	;; [unrolled: 39-line block ×3, first 2 shown]
s_add_u32  s[sgprSrdD+0], s[sgprSrdD+0], s32       // incToNextRow: gra SRD += inc(lower)
s_addc_u32  s[sgprSrdD+1], s[sgprSrdD+1], 0        // incToNextRow: gra SRD += inc(upper)
_buffer_store_b16 v150, v10, s[sgprSrdD:sgprSrdD+3], 0, offen, offset:0,  sc0 sc1 // store D
v_cmp_u_f32 s[32:33], v[vgprValuC+151], v[vgprValuC+151] // check Nan
v_bfe_u32 v6, v[vgprValuC+151], 16, 1              // Non-Nan case: store lsb of bf16
v_add3_u32 v6, v[vgprValuC+151], v6, v9            // Non-Nan case: add lsb and the increment for rounding
v_cndmask_b32 v[vgprValuC+151], v6, v8, s[32:33]   // 
v_lshrrev_b32 v[vgprValuC+151], 16, v[vgprValuC+151] // convert C to bf16
_buffer_store_b16 v151, v10, s[sgprSrdD:sgprSrdD+3], 0, offen, offset:64,  sc0 sc1 // store D
v_cmp_u_f32 s[32:33], v[vgprValuC+152], v[vgprValuC+152] // check Nan
v_bfe_u32 v6, v[vgprValuC+152], 16, 1              // Non-Nan case: store lsb of bf16
v_add3_u32 v6, v[vgprValuC+152], v6, v9            // Non-Nan case: add lsb and the increment for rounding
v_cndmask_b32 v[vgprValuC+152], v6, v8, s[32:33]   // 
v_lshrrev_b32 v[vgprValuC+152], 16, v[vgprValuC+152] // convert C to bf16
_buffer_store_b16 v152, v10, s[sgprSrdD:sgprSrdD+3], 0, offen, offset:128,  sc0 sc1 // store D
v_cmp_u_f32 s[32:33], v[vgprValuC+153], v[vgprValuC+153] // check Nan
v_bfe_u32 v6, v[vgprValuC+153], 16, 1              // Non-Nan case: store lsb of bf16
v_add3_u32 v6, v[vgprValuC+153], v6, v9            // Non-Nan case: add lsb and the increment for rounding
v_cndmask_b32 v[vgprValuC+153], v6, v8, s[32:33]   // 
v_lshrrev_b32 v[vgprValuC+153], 16, v[vgprValuC+153] // convert C to bf16
_buffer_store_b16 v153, v10, s[sgprSrdD:sgprSrdD+3], 0, offen, offset:192,  sc0 sc1 // store D
v_cmp_u_f32 s[32:33], v[vgprValuC+154], v[vgprValuC+154] // check Nan
v_bfe_u32 v6, v[vgprValuC+154], 16, 1              // Non-Nan case: store lsb of bf16
v_add3_u32 v6, v[vgprValuC+154], v6, v9            // Non-Nan case: add lsb and the increment for rounding
v_cndmask_b32 v[vgprValuC+154], v6, v8, s[32:33]   // 
v_lshrrev_b32 v[vgprValuC+154], 16, v[vgprValuC+154] // convert C to bf16
_buffer_store_b16 v154, v10, s[sgprSrdD:sgprSrdD+3], 0, offen, offset:256,  sc0 sc1 // store D
v_cmp_u_f32 s[32:33], v[vgprValuC+155], v[vgprValuC+155] // check Nan
v_bfe_u32 v6, v[vgprValuC+155], 16, 1              // Non-Nan case: store lsb of bf16
v_add3_u32 v6, v[vgprValuC+155], v6, v9            // Non-Nan case: add lsb and the increment for rounding
v_cndmask_b32 v[vgprValuC+155], v6, v8, s[32:33]   // 
v_lshrrev_b32 v[vgprValuC+155], 16, v[vgprValuC+155] // convert C to bf16
_buffer_store_b16 v155, v10, s[sgprSrdD:sgprSrdD+3], 0, offen, offset:320,  sc0 sc1 // store D
v_cmp_u_f32 s[32:33], v[vgprValuC+156], v[vgprValuC+156] // check Nan
v_bfe_u32 v6, v[vgprValuC+156], 16, 1              // Non-Nan case: store lsb of bf16
v_add3_u32 v6, v[vgprValuC+156], v6, v9            // Non-Nan case: add lsb and the increment for rounding
v_cndmask_b32 v[vgprValuC+156], v6, v8, s[32:33]   // 
v_lshrrev_b32 v[vgprValuC+156], 16, v[vgprValuC+156] // convert C to bf16
s_mul_i32 s32, s[sgprStrideD1J], 58                // scale StrideD *= numRows(29) * bpe
s_add_u32  s[sgprSrdD+0], s[sgprSrdD+0], s32       // incToNextRow: gra SRD += inc(lower)
s_addc_u32  s[sgprSrdD+1], s[sgprSrdD+1], 0        // incToNextRow: gra SRD += inc(upper)
_buffer_store_b16 v156, v10, s[sgprSrdD:sgprSrdD+3], 0, offen, offset:0,  sc0 sc1 // store D
v_cmp_u_f32 s[32:33], v[vgprValuC+157], v[vgprValuC+157] // check Nan
v_bfe_u32 v6, v[vgprValuC+157], 16, 1              // Non-Nan case: store lsb of bf16
v_add3_u32 v6, v[vgprValuC+157], v6, v9            // Non-Nan case: add lsb and the increment for rounding
v_cndmask_b32 v[vgprValuC+157], v6, v8, s[32:33]   // 
v_lshrrev_b32 v[vgprValuC+157], 16, v[vgprValuC+157] // convert C to bf16
_buffer_store_b16 v157, v10, s[sgprSrdD:sgprSrdD+3], 0, offen, offset:64,  sc0 sc1 // store D
v_cmp_u_f32 s[32:33], v[vgprValuC+158], v[vgprValuC+158] // check Nan
v_bfe_u32 v6, v[vgprValuC+158], 16, 1              // Non-Nan case: store lsb of bf16
v_add3_u32 v6, v[vgprValuC+158], v6, v9            // Non-Nan case: add lsb and the increment for rounding
v_cndmask_b32 v[vgprValuC+158], v6, v8, s[32:33]   // 
v_lshrrev_b32 v[vgprValuC+158], 16, v[vgprValuC+158] // convert C to bf16
_buffer_store_b16 v158, v10, s[sgprSrdD:sgprSrdD+3], 0, offen, offset:128,  sc0 sc1 // store D
v_cmp_u_f32 s[32:33], v[vgprValuC+159], v[vgprValuC+159] // check Nan
v_bfe_u32 v6, v[vgprValuC+159], 16, 1              // Non-Nan case: store lsb of bf16
v_add3_u32 v6, v[vgprValuC+159], v6, v9            // Non-Nan case: add lsb and the increment for rounding
v_cndmask_b32 v[vgprValuC+159], v6, v8, s[32:33]   // 
v_lshrrev_b32 v[vgprValuC+159], 16, v[vgprValuC+159] // convert C to bf16
_buffer_store_b16 v159, v10, s[sgprSrdD:sgprSrdD+3], 0, offen, offset:192,  sc0 sc1 // store D
v_cmp_u_f32 s[32:33], v[vgprValuC+160], v[vgprValuC+160] // check Nan
v_bfe_u32 v6, v[vgprValuC+160], 16, 1              // Non-Nan case: store lsb of bf16
v_add3_u32 v6, v[vgprValuC+160], v6, v9            // Non-Nan case: add lsb and the increment for rounding
v_cndmask_b32 v[vgprValuC+160], v6, v8, s[32:33]   // 
v_lshrrev_b32 v[vgprValuC+160], 16, v[vgprValuC+160] // convert C to bf16
_buffer_store_b16 v160, v10, s[sgprSrdD:sgprSrdD+3], 0, offen, offset:256,  sc0 sc1 // store D
v_cmp_u_f32 s[32:33], v[vgprValuC+161], v[vgprValuC+161] // check Nan
v_bfe_u32 v6, v[vgprValuC+161], 16, 1              // Non-Nan case: store lsb of bf16
v_add3_u32 v6, v[vgprValuC+161], v6, v9            // Non-Nan case: add lsb and the increment for rounding
v_cndmask_b32 v[vgprValuC+161], v6, v8, s[32:33]   // 
v_lshrrev_b32 v[vgprValuC+161], 16, v[vgprValuC+161] // convert C to bf16
_buffer_store_b16 v161, v10, s[sgprSrdD:sgprSrdD+3], 0, offen, offset:320,  sc0 sc1 // store D
v_cmp_u_f32 s[32:33], v[vgprValuC+162], v[vgprValuC+162] // check Nan
v_bfe_u32 v6, v[vgprValuC+162], 16, 1              // Non-Nan case: store lsb of bf16
v_add3_u32 v6, v[vgprValuC+162], v6, v9            // Non-Nan case: add lsb and the increment for rounding
v_cndmask_b32 v[vgprValuC+162], v6, v8, s[32:33]   // 
v_lshrrev_b32 v[vgprValuC+162], 16, v[vgprValuC+162] // convert C to bf16
s_lshl_b32  s32, s[sgprStrideD1J], 1               // incToNextRow: Scale by BPE
s_add_u32  s[sgprSrdD+0], s[sgprSrdD+0], s32       // incToNextRow: gra SRD += inc(lower)
s_addc_u32  s[sgprSrdD+1], s[sgprSrdD+1], 0        // incToNextRow: gra SRD += inc(upper)
_buffer_store_b16 v162, v10, s[sgprSrdD:sgprSrdD+3], 0, offen, offset:0,  sc0 sc1 // store D
v_cmp_u_f32 s[32:33], v[vgprValuC+163], v[vgprValuC+163] // check Nan
v_bfe_u32 v6, v[vgprValuC+163], 16, 1              // Non-Nan case: store lsb of bf16
v_add3_u32 v6, v[vgprValuC+163], v6, v9            // Non-Nan case: add lsb and the increment for rounding
v_cndmask_b32 v[vgprValuC+163], v6, v8, s[32:33]   // 
v_lshrrev_b32 v[vgprValuC+163], 16, v[vgprValuC+163] // convert C to bf16
_buffer_store_b16 v163, v10, s[sgprSrdD:sgprSrdD+3], 0, offen, offset:64,  sc0 sc1 // store D
v_cmp_u_f32 s[32:33], v[vgprValuC+164], v[vgprValuC+164] // check Nan
v_bfe_u32 v6, v[vgprValuC+164], 16, 1              // Non-Nan case: store lsb of bf16
v_add3_u32 v6, v[vgprValuC+164], v6, v9            // Non-Nan case: add lsb and the increment for rounding
v_cndmask_b32 v[vgprValuC+164], v6, v8, s[32:33]   // 
v_lshrrev_b32 v[vgprValuC+164], 16, v[vgprValuC+164] // convert C to bf16
_buffer_store_b16 v164, v10, s[sgprSrdD:sgprSrdD+3], 0, offen, offset:128,  sc0 sc1 // store D
v_cmp_u_f32 s[32:33], v[vgprValuC+165], v[vgprValuC+165] // check Nan
v_bfe_u32 v6, v[vgprValuC+165], 16, 1              // Non-Nan case: store lsb of bf16
v_add3_u32 v6, v[vgprValuC+165], v6, v9            // Non-Nan case: add lsb and the increment for rounding
v_cndmask_b32 v[vgprValuC+165], v6, v8, s[32:33]   // 
v_lshrrev_b32 v[vgprValuC+165], 16, v[vgprValuC+165] // convert C to bf16
_buffer_store_b16 v165, v10, s[sgprSrdD:sgprSrdD+3], 0, offen, offset:192,  sc0 sc1 // store D
v_cmp_u_f32 s[32:33], v[vgprValuC+166], v[vgprValuC+166] // check Nan
v_bfe_u32 v6, v[vgprValuC+166], 16, 1              // Non-Nan case: store lsb of bf16
v_add3_u32 v6, v[vgprValuC+166], v6, v9            // Non-Nan case: add lsb and the increment for rounding
v_cndmask_b32 v[vgprValuC+166], v6, v8, s[32:33]   // 
v_lshrrev_b32 v[vgprValuC+166], 16, v[vgprValuC+166] // convert C to bf16
_buffer_store_b16 v166, v10, s[sgprSrdD:sgprSrdD+3], 0, offen, offset:256,  sc0 sc1 // store D
v_cmp_u_f32 s[32:33], v[vgprValuC+167], v[vgprValuC+167] // check Nan
v_bfe_u32 v6, v[vgprValuC+167], 16, 1              // Non-Nan case: store lsb of bf16
v_add3_u32 v6, v[vgprValuC+167], v6, v9            // Non-Nan case: add lsb and the increment for rounding
v_cndmask_b32 v[vgprValuC+167], v6, v8, s[32:33]   // 
v_lshrrev_b32 v[vgprValuC+167], 16, v[vgprValuC+167] // convert C to bf16
_buffer_store_b16 v167, v10, s[sgprSrdD:sgprSrdD+3], 0, offen, offset:320,  sc0 sc1 // store D
v_cmp_u_f32 s[32:33], v[vgprValuC+168], v[vgprValuC+168] // check Nan
v_bfe_u32 v6, v[vgprValuC+168], 16, 1              // Non-Nan case: store lsb of bf16
v_add3_u32 v6, v[vgprValuC+168], v6, v9            // Non-Nan case: add lsb and the increment for rounding
v_cndmask_b32 v[vgprValuC+168], v6, v8, s[32:33]   // 
v_lshrrev_b32 v[vgprValuC+168], 16, v[vgprValuC+168] // convert C to bf16
s_lshl_b32  s32, s[sgprStrideD1J], 1               // incToNextRow: Scale by BPE
	;; [unrolled: 39-line block ×3, first 2 shown]
s_add_u32  s[sgprSrdD+0], s[sgprSrdD+0], s32       // incToNextRow: gra SRD += inc(lower)
s_addc_u32  s[sgprSrdD+1], s[sgprSrdD+1], 0        // incToNextRow: gra SRD += inc(upper)
_buffer_store_b16 v177, v10, s[sgprSrdD:sgprSrdD+3], 0, offen, offset:0,  sc0 sc1 // store D
v_cmp_u_f32 s[32:33], v[vgprValuC+178], v[vgprValuC+178] // check Nan
v_bfe_u32 v6, v[vgprValuC+178], 16, 1              // Non-Nan case: store lsb of bf16
v_add3_u32 v6, v[vgprValuC+178], v6, v9            // Non-Nan case: add lsb and the increment for rounding
v_cndmask_b32 v[vgprValuC+178], v6, v8, s[32:33]   // 
v_lshrrev_b32 v[vgprValuC+178], 16, v[vgprValuC+178] // convert C to bf16
_buffer_store_b16 v178, v10, s[sgprSrdD:sgprSrdD+3], 0, offen, offset:64,  sc0 sc1 // store D
v_cmp_u_f32 s[32:33], v[vgprValuC+179], v[vgprValuC+179] // check Nan
v_bfe_u32 v6, v[vgprValuC+179], 16, 1              // Non-Nan case: store lsb of bf16
v_add3_u32 v6, v[vgprValuC+179], v6, v9            // Non-Nan case: add lsb and the increment for rounding
v_cndmask_b32 v[vgprValuC+179], v6, v8, s[32:33]   // 
v_lshrrev_b32 v[vgprValuC+179], 16, v[vgprValuC+179] // convert C to bf16
	;; [unrolled: 6-line block ×6, first 2 shown]
s_mul_i32 s32, s[sgprStrideD1J], 58                // scale StrideD *= numRows(29) * bpe
s_add_u32  s[sgprSrdD+0], s[sgprSrdD+0], s32       // incToNextRow: gra SRD += inc(lower)
s_addc_u32  s[sgprSrdD+1], s[sgprSrdD+1], 0        // incToNextRow: gra SRD += inc(upper)
_buffer_store_b16 v183, v10, s[sgprSrdD:sgprSrdD+3], 0, offen, offset:0,  sc0 sc1 // store D
v_cmp_u_f32 s[32:33], v[vgprValuC+184], v[vgprValuC+184] // check Nan
v_bfe_u32 v6, v[vgprValuC+184], 16, 1              // Non-Nan case: store lsb of bf16
v_add3_u32 v6, v[vgprValuC+184], v6, v9            // Non-Nan case: add lsb and the increment for rounding
v_cndmask_b32 v[vgprValuC+184], v6, v8, s[32:33]   // 
v_lshrrev_b32 v[vgprValuC+184], 16, v[vgprValuC+184] // convert C to bf16
_buffer_store_b16 v184, v10, s[sgprSrdD:sgprSrdD+3], 0, offen, offset:64,  sc0 sc1 // store D
v_cmp_u_f32 s[32:33], v[vgprValuC+185], v[vgprValuC+185] // check Nan
v_bfe_u32 v6, v[vgprValuC+185], 16, 1              // Non-Nan case: store lsb of bf16
v_add3_u32 v6, v[vgprValuC+185], v6, v9            // Non-Nan case: add lsb and the increment for rounding
v_cndmask_b32 v[vgprValuC+185], v6, v8, s[32:33]   // 
v_lshrrev_b32 v[vgprValuC+185], 16, v[vgprValuC+185] // convert C to bf16
_buffer_store_b16 v185, v10, s[sgprSrdD:sgprSrdD+3], 0, offen, offset:128,  sc0 sc1 // store D
v_cmp_u_f32 s[32:33], v[vgprValuC+186], v[vgprValuC+186] // check Nan
v_bfe_u32 v6, v[vgprValuC+186], 16, 1              // Non-Nan case: store lsb of bf16
v_add3_u32 v6, v[vgprValuC+186], v6, v9            // Non-Nan case: add lsb and the increment for rounding
v_cndmask_b32 v[vgprValuC+186], v6, v8, s[32:33]   // 
v_lshrrev_b32 v[vgprValuC+186], 16, v[vgprValuC+186] // convert C to bf16
_buffer_store_b16 v186, v10, s[sgprSrdD:sgprSrdD+3], 0, offen, offset:192,  sc0 sc1 // store D
v_cmp_u_f32 s[32:33], v[vgprValuC+187], v[vgprValuC+187] // check Nan
v_bfe_u32 v6, v[vgprValuC+187], 16, 1              // Non-Nan case: store lsb of bf16
v_add3_u32 v6, v[vgprValuC+187], v6, v9            // Non-Nan case: add lsb and the increment for rounding
v_cndmask_b32 v[vgprValuC+187], v6, v8, s[32:33]   // 
v_lshrrev_b32 v[vgprValuC+187], 16, v[vgprValuC+187] // convert C to bf16
_buffer_store_b16 v187, v10, s[sgprSrdD:sgprSrdD+3], 0, offen, offset:256,  sc0 sc1 // store D
v_cmp_u_f32 s[32:33], v[vgprValuC+188], v[vgprValuC+188] // check Nan
v_bfe_u32 v6, v[vgprValuC+188], 16, 1              // Non-Nan case: store lsb of bf16
v_add3_u32 v6, v[vgprValuC+188], v6, v9            // Non-Nan case: add lsb and the increment for rounding
v_cndmask_b32 v[vgprValuC+188], v6, v8, s[32:33]   // 
v_lshrrev_b32 v[vgprValuC+188], 16, v[vgprValuC+188] // convert C to bf16
_buffer_store_b16 v188, v10, s[sgprSrdD:sgprSrdD+3], 0, offen, offset:320,  sc0 sc1 // store D
v_cmp_u_f32 s[32:33], v[vgprValuC+189], v[vgprValuC+189] // check Nan
v_bfe_u32 v6, v[vgprValuC+189], 16, 1              // Non-Nan case: store lsb of bf16
v_add3_u32 v6, v[vgprValuC+189], v6, v9            // Non-Nan case: add lsb and the increment for rounding
v_cndmask_b32 v[vgprValuC+189], v6, v8, s[32:33]   // 
v_lshrrev_b32 v[vgprValuC+189], 16, v[vgprValuC+189] // convert C to bf16
s_lshl_b32  s32, s[sgprStrideD1J], 1               // incToNextRow: Scale by BPE
s_add_u32  s[sgprSrdD+0], s[sgprSrdD+0], s32       // incToNextRow: gra SRD += inc(lower)
s_addc_u32  s[sgprSrdD+1], s[sgprSrdD+1], 0        // incToNextRow: gra SRD += inc(upper)
_buffer_store_b16 v189, v10, s[sgprSrdD:sgprSrdD+3], 0, offen, offset:0,  sc0 sc1 // store D
v_cmp_u_f32 s[32:33], v[vgprValuC+190], v[vgprValuC+190] // check Nan
v_bfe_u32 v6, v[vgprValuC+190], 16, 1              // Non-Nan case: store lsb of bf16
v_add3_u32 v6, v[vgprValuC+190], v6, v9            // Non-Nan case: add lsb and the increment for rounding
v_cndmask_b32 v[vgprValuC+190], v6, v8, s[32:33]   // 
v_lshrrev_b32 v[vgprValuC+190], 16, v[vgprValuC+190] // convert C to bf16
_buffer_store_b16 v190, v10, s[sgprSrdD:sgprSrdD+3], 0, offen, offset:64,  sc0 sc1 // store D
v_cmp_u_f32 s[32:33], v[vgprValuC+191], v[vgprValuC+191] // check Nan
v_bfe_u32 v6, v[vgprValuC+191], 16, 1              // Non-Nan case: store lsb of bf16
v_add3_u32 v6, v[vgprValuC+191], v6, v9            // Non-Nan case: add lsb and the increment for rounding
v_cndmask_b32 v[vgprValuC+191], v6, v8, s[32:33]   // 
v_lshrrev_b32 v[vgprValuC+191], 16, v[vgprValuC+191] // convert C to bf16
_buffer_store_b16 v191, v10, s[sgprSrdD:sgprSrdD+3], 0, offen, offset:128,  sc0 sc1 // store D
v_cmp_u_f32 s[32:33], v[vgprValuC+192], v[vgprValuC+192] // check Nan
v_bfe_u32 v6, v[vgprValuC+192], 16, 1              // Non-Nan case: store lsb of bf16
v_add3_u32 v6, v[vgprValuC+192], v6, v9            // Non-Nan case: add lsb and the increment for rounding
v_cndmask_b32 v[vgprValuC+192], v6, v8, s[32:33]   // 
v_lshrrev_b32 v[vgprValuC+192], 16, v[vgprValuC+192] // convert C to bf16
_buffer_store_b16 v192, v10, s[sgprSrdD:sgprSrdD+3], 0, offen, offset:192,  sc0 sc1 // store D
v_cmp_u_f32 s[32:33], v[vgprValuC+193], v[vgprValuC+193] // check Nan
v_bfe_u32 v6, v[vgprValuC+193], 16, 1              // Non-Nan case: store lsb of bf16
v_add3_u32 v6, v[vgprValuC+193], v6, v9            // Non-Nan case: add lsb and the increment for rounding
v_cndmask_b32 v[vgprValuC+193], v6, v8, s[32:33]   // 
v_lshrrev_b32 v[vgprValuC+193], 16, v[vgprValuC+193] // convert C to bf16
_buffer_store_b16 v193, v10, s[sgprSrdD:sgprSrdD+3], 0, offen, offset:256,  sc0 sc1 // store D
v_cmp_u_f32 s[32:33], v[vgprValuC+194], v[vgprValuC+194] // check Nan
v_bfe_u32 v6, v[vgprValuC+194], 16, 1              // Non-Nan case: store lsb of bf16
v_add3_u32 v6, v[vgprValuC+194], v6, v9            // Non-Nan case: add lsb and the increment for rounding
v_cndmask_b32 v[vgprValuC+194], v6, v8, s[32:33]   // 
v_lshrrev_b32 v[vgprValuC+194], 16, v[vgprValuC+194] // convert C to bf16
_buffer_store_b16 v194, v10, s[sgprSrdD:sgprSrdD+3], 0, offen, offset:320,  sc0 sc1 // store D
v_cmp_u_f32 s[32:33], v[vgprValuC+195], v[vgprValuC+195] // check Nan
v_bfe_u32 v6, v[vgprValuC+195], 16, 1              // Non-Nan case: store lsb of bf16
v_add3_u32 v6, v[vgprValuC+195], v6, v9            // Non-Nan case: add lsb and the increment for rounding
v_cndmask_b32 v[vgprValuC+195], v6, v8, s[32:33]   // 
v_lshrrev_b32 v[vgprValuC+195], 16, v[vgprValuC+195] // convert C to bf16
s_lshl_b32  s32, s[sgprStrideD1J], 1               // incToNextRow: Scale by BPE
	;; [unrolled: 39-line block ×3, first 2 shown]
s_add_u32  s[sgprSrdD+0], s[sgprSrdD+0], s32       // incToNextRow: gra SRD += inc(lower)
s_addc_u32  s[sgprSrdD+1], s[sgprSrdD+1], 0        // incToNextRow: gra SRD += inc(upper)
_buffer_store_b16 v201, v10, s[sgprSrdD:sgprSrdD+3], 0, offen, offset:0,  sc0 sc1 // store D
v_cmp_u_f32 s[32:33], v[vgprValuC+202], v[vgprValuC+202] // check Nan
v_bfe_u32 v6, v[vgprValuC+202], 16, 1              // Non-Nan case: store lsb of bf16
v_add3_u32 v6, v[vgprValuC+202], v6, v9            // Non-Nan case: add lsb and the increment for rounding
v_cndmask_b32 v[vgprValuC+202], v6, v8, s[32:33]   // 
v_lshrrev_b32 v[vgprValuC+202], 16, v[vgprValuC+202] // convert C to bf16
_buffer_store_b16 v202, v10, s[sgprSrdD:sgprSrdD+3], 0, offen, offset:64,  sc0 sc1 // store D
v_cmp_u_f32 s[32:33], v[vgprValuC+203], v[vgprValuC+203] // check Nan
v_bfe_u32 v6, v[vgprValuC+203], 16, 1              // Non-Nan case: store lsb of bf16
v_add3_u32 v6, v[vgprValuC+203], v6, v9            // Non-Nan case: add lsb and the increment for rounding
v_cndmask_b32 v[vgprValuC+203], v6, v8, s[32:33]   // 
v_lshrrev_b32 v[vgprValuC+203], 16, v[vgprValuC+203] // convert C to bf16
	;; [unrolled: 6-line block ×5, first 2 shown]
_buffer_store_b16 v206, v10, s[sgprSrdD:sgprSrdD+3], 0, offen, offset:320,  sc0 sc1 // store D
s_nop 0                                            // 1 wait state required when next inst writes vgprs held by previous dwordx4 store inst
s_branch label_GW_End_23                           // jump to end
label_GW_End_23:

s_endpgm                                           // Kernel End
OptNLL_End_17:


/******************************************/
/* Ord. NoLoadLoop - Begin                                      */
/******************************************/


	;; [unrolled: 1-line block ×4, first 2 shown]
/* iter 0 (last unrolled loop) */

/*  grEndMfmaIndex:0, lwStartMfmaIndex:167, lwEndMfmaIndex:167  */
/*  numMfmaForLR:19, barrierMfmaIndex:172, LocalWritePerMfma:0.165 */
/*  mfmaIndex:0  */
s_waitcnt lgkmcnt(0)                               // lgkmcnt=0 vmcnt=-1wait for prior local read local write old=0, new=0 newLW=0 newLR=0
v_mfma_f32_16x16x16_bf16 a[0+0:3+0], v[vgprValuB_X0_I0+0+0+0:vgprValuB_X0_I0+0+0+0+1], v[vgprValuA_X0_I0+0+0+0:vgprValuA_X0_I0+0+0+0+1], a[0:3]
/*  mfmaIndex:1  */
_ds_load_b64 v[vgprValuA_X1_I0+0:vgprValuA_X1_I0+0+1], v[vgprLocalReadAddrA] offset:32 // L -> Reg lro=16 swapByteOffset=0 ti=32 vIdx=0 rIdx=0 oIdx=0 buffer=1 iui=0
v_mfma_f32_16x16x16_bf16 a[4+0:7+0], v[vgprValuB_X0_I0+0+0+0:vgprValuB_X0_I0+0+0+0+1], v[vgprValuA_X0_I0+2+0+0:vgprValuA_X0_I0+2+0+0+1], a[4:7]
/*  mfmaIndex:2  */
_ds_load_b64 v[vgprValuB_X1_I0+0:vgprValuB_X1_I0+0+1], v[vgprLocalReadAddrB] offset:32 // L -> Reg lro=16 swapByteOffset=0 ti=32 vIdx=0 rIdx=0 oIdx=0 buffer=1 iui=0
v_mfma_f32_16x16x16_bf16 a[8+0:11+0], v[vgprValuB_X0_I0+0+0+0:vgprValuB_X0_I0+0+0+0+1], v[vgprValuA_X0_I0+4+0+0:vgprValuA_X0_I0+4+0+0+1], a[8:11]
/*  mfmaIndex:3  */
_ds_load_b64 v[vgprValuA_X1_I0+2:vgprValuA_X1_I0+2+1], v[vgprLocalReadAddrA] offset:4384 // L -> Reg lro=16 swapByteOffset=0 ti=32 vIdx=1 rIdx=0 oIdx=0 buffer=1 iui=0
v_mfma_f32_16x16x16_bf16 a[12+0:15+0], v[vgprValuB_X0_I0+0+0+0:vgprValuB_X0_I0+0+0+0+1], v[vgprValuA_X0_I0+6+0+0:vgprValuA_X0_I0+6+0+0+1], a[12:15]
/*  mfmaIndex:4  */
_ds_load_b64 v[vgprValuA_X1_I0+4:vgprValuA_X1_I0+4+1], v[vgprLocalReadAddrA] offset:8736 // L -> Reg lro=16 swapByteOffset=0 ti=32 vIdx=2 rIdx=0 oIdx=0 buffer=1 iui=0
	;; [unrolled: 3-line block ×5, first 2 shown]
v_mfma_f32_16x16x16_bf16 a[40+0:43+0], v[vgprValuB_X0_I0+2+0+0:vgprValuB_X0_I0+2+0+0+1], v[vgprValuA_X0_I0+8+0+0:vgprValuA_X0_I0+8+0+0+1], a[40:43]
/*  mfmaIndex:8  */
_ds_load_b64 v[vgprValuB_X1_I0+2:vgprValuB_X1_I0+2+1], v[vgprLocalReadAddrB] offset:4640 // L -> Reg lro=16 swapByteOffset=0 ti=32 vIdx=1 rIdx=0 oIdx=0 buffer=1 iui=0
v_mfma_f32_16x16x16_bf16 a[36+0:39+0], v[vgprValuB_X0_I0+2+0+0:vgprValuB_X0_I0+2+0+0+1], v[vgprValuA_X0_I0+6+0+0:vgprValuA_X0_I0+6+0+0+1], a[36:39]
/*  mfmaIndex:9  */
_ds_load_b64 v[vgprValuB_X1_I0+4:vgprValuB_X1_I0+4+1], v[vgprLocalReadAddrB] offset:9248 // L -> Reg lro=16 swapByteOffset=0 ti=32 vIdx=2 rIdx=0 oIdx=0 buffer=1 iui=0
	;; [unrolled: 3-line block ×7, first 2 shown]
v_mfma_f32_16x16x16_bf16 a[56+0:59+0], v[vgprValuB_X0_I0+4+0+0:vgprValuB_X0_I0+4+0+0+1], v[vgprValuA_X0_I0+4+0+0:vgprValuA_X0_I0+4+0+0+1], a[56:59]
/*  mfmaIndex:15  */
/* localReadsVacancy: latencyLeft 2 */
_ds_load_b64 v[vgprValuA_X2_I0+0:vgprValuA_X2_I0+0+1], v[vgprLocalReadAddrA] offset:64 // L -> Reg lro=32 swapByteOffset=0 ti=32 vIdx=0 rIdx=0 oIdx=0 buffer=2 iui=0
v_mfma_f32_16x16x16_bf16 a[60+0:63+0], v[vgprValuB_X0_I0+4+0+0:vgprValuB_X0_I0+4+0+0+1], v[vgprValuA_X0_I0+6+0+0:vgprValuA_X0_I0+6+0+0+1], a[60:63]
/*  mfmaIndex:16  */
/* localReadsVacancy: latencyLeft 2 */
_ds_load_b64 v[vgprValuB_X2_I0+0:vgprValuB_X2_I0+0+1], v[vgprLocalReadAddrB] offset:64 // L -> Reg lro=32 swapByteOffset=0 ti=32 vIdx=0 rIdx=0 oIdx=0 buffer=2 iui=0
v_mfma_f32_16x16x16_bf16 a[64+0:67+0], v[vgprValuB_X0_I0+4+0+0:vgprValuB_X0_I0+4+0+0+1], v[vgprValuA_X0_I0+8+0+0:vgprValuA_X0_I0+8+0+0+1], a[64:67]
/*  mfmaIndex:17  */
/* localReadsVacancy: latencyLeft 2 */
_ds_load_b64 v[vgprValuA_X2_I0+2:vgprValuA_X2_I0+2+1], v[vgprLocalReadAddrA] offset:4416 // L -> Reg lro=32 swapByteOffset=0 ti=32 vIdx=1 rIdx=0 oIdx=0 buffer=2 iui=0
v_mfma_f32_16x16x16_bf16 a[68+0:71+0], v[vgprValuB_X0_I0+4+0+0:vgprValuB_X0_I0+4+0+0+1], v[vgprValuA_X0_I0+10+0+0:vgprValuA_X0_I0+10+0+0+1], a[68:71]
/*  mfmaIndex:18  */
/* localReadsVacancy: latencyLeft 2 */
_ds_load_b64 v[vgprValuA_X2_I0+4:vgprValuA_X2_I0+4+1], v[vgprLocalReadAddrA] offset:8768 // L -> Reg lro=32 swapByteOffset=0 ti=32 vIdx=2 rIdx=0 oIdx=0 buffer=2 iui=0
	;; [unrolled: 4-line block ×5, first 2 shown]
v_mfma_f32_16x16x16_bf16 a[80+0:83+0], v[vgprValuB_X0_I0+6+0+0:vgprValuB_X0_I0+6+0+0+1], v[vgprValuA_X0_I0+4+0+0:vgprValuA_X0_I0+4+0+0+1], a[80:83]
/*  mfmaIndex:22  */
/* localReadsVacancy: latencyLeft 2 */
_ds_load_b64 v[vgprValuB_X2_I0+2:vgprValuB_X2_I0+2+1], v[vgprLocalReadAddrB] offset:4672 // L -> Reg lro=32 swapByteOffset=0 ti=32 vIdx=1 rIdx=0 oIdx=0 buffer=2 iui=0
v_mfma_f32_16x16x16_bf16 a[76+0:79+0], v[vgprValuB_X0_I0+6+0+0:vgprValuB_X0_I0+6+0+0+1], v[vgprValuA_X0_I0+2+0+0:vgprValuA_X0_I0+2+0+0+1], a[76:79]
/*  mfmaIndex:23  */
/* localReadsVacancy: latencyLeft 2 */
_ds_load_b64 v[vgprValuB_X2_I0+4:vgprValuB_X2_I0+4+1], v[vgprLocalReadAddrB] offset:9280 // L -> Reg lro=32 swapByteOffset=0 ti=32 vIdx=2 rIdx=0 oIdx=0 buffer=2 iui=0
	;; [unrolled: 4-line block ×7, first 2 shown]
v_mfma_f32_16x16x16_bf16 a[112+0:115+0], v[vgprValuB_X0_I0+8+0+0:vgprValuB_X0_I0+8+0+0+1], v[vgprValuA_X0_I0+8+0+0:vgprValuA_X0_I0+8+0+0+1], a[112:115]
/*  mfmaIndex:29  */
/* localReadsVacancy: latencyLeft 2 */
_ds_load_b64 v[vgprValuA_X3_I0+0:vgprValuA_X3_I0+0+1], v[vgprLocalReadAddrA] offset:96 // L -> Reg lro=48 swapByteOffset=0 ti=32 vIdx=0 rIdx=0 oIdx=0 buffer=3 iui=0
v_mfma_f32_16x16x16_bf16 a[116+0:119+0], v[vgprValuB_X0_I0+8+0+0:vgprValuB_X0_I0+8+0+0+1], v[vgprValuA_X0_I0+10+0+0:vgprValuA_X0_I0+10+0+0+1], a[116:119]
/*  mfmaIndex:30  */
/* localReadsVacancy: latencyLeft 2 */
_ds_load_b64 v[vgprValuB_X3_I0+0:vgprValuB_X3_I0+0+1], v[vgprLocalReadAddrB] offset:96 // L -> Reg lro=48 swapByteOffset=0 ti=32 vIdx=0 rIdx=0 oIdx=0 buffer=3 iui=0
v_mfma_f32_16x16x16_bf16 a[140+0:143+0], v[vgprValuB_X0_I0+10+0+0:vgprValuB_X0_I0+10+0+0+1], v[vgprValuA_X0_I0+10+0+0:vgprValuA_X0_I0+10+0+0+1], a[140:143]
/*  mfmaIndex:31  */
/* localReadsVacancy: latencyLeft 2 */
_ds_load_b64 v[vgprValuA_X3_I0+2:vgprValuA_X3_I0+2+1], v[vgprLocalReadAddrA] offset:4448 // L -> Reg lro=48 swapByteOffset=0 ti=32 vIdx=1 rIdx=0 oIdx=0 buffer=3 iui=0
v_mfma_f32_16x16x16_bf16 a[136+0:139+0], v[vgprValuB_X0_I0+10+0+0:vgprValuB_X0_I0+10+0+0+1], v[vgprValuA_X0_I0+8+0+0:vgprValuA_X0_I0+8+0+0+1], a[136:139]
/*  mfmaIndex:32  */
/* localReadsVacancy: latencyLeft 2 */
_ds_load_b64 v[vgprValuA_X3_I0+4:vgprValuA_X3_I0+4+1], v[vgprLocalReadAddrA] offset:8800 // L -> Reg lro=48 swapByteOffset=0 ti=32 vIdx=2 rIdx=0 oIdx=0 buffer=3 iui=0
	;; [unrolled: 4-line block ×5, first 2 shown]
v_mfma_f32_16x16x16_bf16 a[120+0:123+0], v[vgprValuB_X0_I0+10+0+0:vgprValuB_X0_I0+10+0+0+1], v[vgprValuA_X0_I0+0+0+0:vgprValuA_X0_I0+0+0+0+1], a[120:123]
/*  mfmaIndex:36  */
/* localReadsVacancy: latencyLeft 2 */
_ds_load_b64 v[vgprValuB_X3_I0+2:vgprValuB_X3_I0+2+1], v[vgprLocalReadAddrB] offset:4704 // L -> Reg lro=48 swapByteOffset=0 ti=32 vIdx=1 rIdx=0 oIdx=0 buffer=3 iui=0
v_mfma_f32_16x16x16_bf16 a[144+0:147+0], v[vgprValuB_X0_I0+12+0+0:vgprValuB_X0_I0+12+0+0+1], v[vgprValuA_X0_I0+0+0+0:vgprValuA_X0_I0+0+0+0+1], a[144:147]
/*  mfmaIndex:37  */
/* localReadsVacancy: latencyLeft 2 */
_ds_load_b64 v[vgprValuB_X3_I0+4:vgprValuB_X3_I0+4+1], v[vgprLocalReadAddrB] offset:9312 // L -> Reg lro=48 swapByteOffset=0 ti=32 vIdx=2 rIdx=0 oIdx=0 buffer=3 iui=0
	;; [unrolled: 4-line block ×7, first 2 shown]
v_mfma_f32_16x16x16_bf16 a[188+0:191+0], v[vgprValuB_X0_I0+14+0+0:vgprValuB_X0_I0+14+0+0+1], v[vgprValuA_X0_I0+10+0+0:vgprValuA_X0_I0+10+0+0+1], a[188:191]
/*  mfmaIndex:43  */
/* localReadsVacancy: latencyLeft 2 */
v_mfma_f32_16x16x16_bf16 a[184+0:187+0], v[vgprValuB_X0_I0+14+0+0:vgprValuB_X0_I0+14+0+0+1], v[vgprValuA_X0_I0+8+0+0:vgprValuA_X0_I0+8+0+0+1], a[184:187]
/*  mfmaIndex:44  */
/* localReadsVacancy: latencyLeft 2 */
	;; [unrolled: 3-line block ×5, first 2 shown]
v_mfma_f32_16x16x16_bf16 a[168+0:171+0], v[vgprValuB_X0_I0+14+0+0:vgprValuB_X0_I0+14+0+0+1], v[vgprValuA_X0_I0+0+0+0:vgprValuA_X0_I0+0+0+0+1], a[168:171]
/* numPrefetchIter=0 */
/* dataAtIterA=-1 numReadsIterA=1 skipReadsIterA=1 readsPerIterA=6 */
/* dataAtIterB=-1 numReadsIterB=1 skipReadsIterB=1 readsPerIterB=8 */


/* iter 1 (last unrolled loop) */

/*  grEndMfmaIndex:0, lwStartMfmaIndex:167, lwEndMfmaIndex:167  */
/*  numMfmaForLR:19, barrierMfmaIndex:172, LocalWritePerMfma:0.165 */
/*  mfmaIndex:48  */
/* localReadsVacancy: latencyLeft 2 */
s_waitcnt lgkmcnt(15)                              // lgkmcnt=0 vmcnt=-1wait for prior local read local write old=14, new=14 newLW=0 newLR=0
v_mfma_f32_16x16x16_bf16 a[0+0:3+0], v[vgprValuB_X1_I0+0+0+0:vgprValuB_X1_I0+0+0+0+1], v[vgprValuA_X1_I0+0+0+0:vgprValuA_X1_I0+0+0+0+1], a[0:3]
/*  mfmaIndex:49  */
/* localReadsVacancy: latencyLeft 2 */
v_mfma_f32_16x16x16_bf16 a[4+0:7+0], v[vgprValuB_X1_I0+0+0+0:vgprValuB_X1_I0+0+0+0+1], v[vgprValuA_X1_I0+2+0+0:vgprValuA_X1_I0+2+0+0+1], a[4:7]
/*  mfmaIndex:50  */
/* localReadsVacancy: latencyLeft 2 */
	;; [unrolled: 3-line block ×47, first 2 shown]
v_mfma_f32_16x16x16_bf16 a[168+0:171+0], v[vgprValuB_X1_I0+14+0+0:vgprValuB_X1_I0+14+0+0+1], v[vgprValuA_X1_I0+0+0+0:vgprValuA_X1_I0+0+0+0+1], a[168:171]
/* numPrefetchIter=0 */
/* dataAtIterA=0 numReadsIterA=2 skipReadsIterA=1 readsPerIterA=6 */
/* dataAtIterB=0 numReadsIterB=2 skipReadsIterB=1 readsPerIterB=8 */


/* iter 2 (last unrolled loop) */

/*  grEndMfmaIndex:0, lwStartMfmaIndex:167, lwEndMfmaIndex:167  */
/*  numMfmaForLR:19, barrierMfmaIndex:172, LocalWritePerMfma:0.165 */
/*  mfmaIndex:96  */
/* localReadsVacancy: latencyLeft 2 */
s_waitcnt lgkmcnt(0)                               // lgkmcnt=0 vmcnt=-1wait for prior local read local write old=0, new=0 newLW=0 newLR=0
v_mfma_f32_16x16x16_bf16 a[0+0:3+0], v[vgprValuB_X2_I0+0+0+0:vgprValuB_X2_I0+0+0+0+1], v[vgprValuA_X2_I0+0+0+0:vgprValuA_X2_I0+0+0+0+1], a[0:3]
/*  mfmaIndex:97  */
/* localReadsVacancy: latencyLeft 2 */
v_mfma_f32_16x16x16_bf16 a[4+0:7+0], v[vgprValuB_X2_I0+0+0+0:vgprValuB_X2_I0+0+0+0+1], v[vgprValuA_X2_I0+2+0+0:vgprValuA_X2_I0+2+0+0+1], a[4:7]
/*  mfmaIndex:98  */
/* localReadsVacancy: latencyLeft 2 */
	;; [unrolled: 3-line block ×47, first 2 shown]
v_mfma_f32_16x16x16_bf16 a[168+0:171+0], v[vgprValuB_X2_I0+14+0+0:vgprValuB_X2_I0+14+0+0+1], v[vgprValuA_X2_I0+0+0+0:vgprValuA_X2_I0+0+0+0+1], a[168:171]
/* numPrefetchIter=0 */
/* dataAtIterA=1 numReadsIterA=3 skipReadsIterA=1 readsPerIterA=6 */
/* dataAtIterB=1 numReadsIterB=3 skipReadsIterB=1 readsPerIterB=8 */


/* iter 3 (last unrolled loop) */

/*  grEndMfmaIndex:0, lwStartMfmaIndex:167, lwEndMfmaIndex:167  */
/*  numMfmaForLR:19, barrierMfmaIndex:172, LocalWritePerMfma:0.165 */
/*  mfmaIndex:144  */
s_waitcnt lgkmcnt(0)                               // lgkmcnt=0 vmcnt=-1wait for prior local read local write old=0, new=0 newLW=0 newLR=0
v_mfma_f32_16x16x16_bf16 a[0+0:3+0], v[vgprValuB_X3_I0+0+0+0:vgprValuB_X3_I0+0+0+0+1], v[vgprValuA_X3_I0+0+0+0:vgprValuA_X3_I0+0+0+0+1], a[0:3]
/*  mfmaIndex:145  */
v_mfma_f32_16x16x16_bf16 a[4+0:7+0], v[vgprValuB_X3_I0+0+0+0:vgprValuB_X3_I0+0+0+0+1], v[vgprValuA_X3_I0+2+0+0:vgprValuA_X3_I0+2+0+0+1], a[4:7]
/*  mfmaIndex:146  */
	;; [unrolled: 2-line block ×22, first 2 shown]
/* 1 LDS buffer: read-sync-write */
s_waitcnt lgkmcnt(0)                               // 
s_barrier                                          // 
v_mfma_f32_16x16x16_bf16 a[76+0:79+0], v[vgprValuB_X3_I0+6+0+0:vgprValuB_X3_I0+6+0+0+1], v[vgprValuA_X3_I0+2+0+0:vgprValuA_X3_I0+2+0+0+1], a[76:79]
/*  mfmaIndex:167  */
s_setprio 3                                        // store optimization
v_mfma_f32_16x16x16_bf16 a[72+0:75+0], v[vgprValuB_X3_I0+6+0+0:vgprValuB_X3_I0+6+0+0+1], v[vgprValuA_X3_I0+0+0+0:vgprValuA_X3_I0+0+0+0+1], a[72:75]
/*  mfmaIndex:168  */
v_mfma_f32_16x16x16_bf16 a[96+0:99+0], v[vgprValuB_X3_I0+8+0+0:vgprValuB_X3_I0+8+0+0+1], v[vgprValuA_X3_I0+0+0+0:vgprValuA_X3_I0+0+0+0+1], a[96:99]
/*  mfmaIndex:169  */
	;; [unrolled: 2-line block ×4, first 2 shown]
v_mfma_f32_16x16x16_bf16 a[108+0:111+0], v[vgprValuB_X3_I0+8+0+0:vgprValuB_X3_I0+8+0+0+1], v[vgprValuA_X3_I0+6+0+0:vgprValuA_X3_I0+6+0+0+1], a[108:111]
s_setprio 0                                        // store optimization
/*  mfmaIndex:172  */
v_mfma_f32_16x16x16_bf16 a[112+0:115+0], v[vgprValuB_X3_I0+8+0+0:vgprValuB_X3_I0+8+0+0+1], v[vgprValuA_X3_I0+8+0+0:vgprValuA_X3_I0+8+0+0+1], a[112:115]
/*  mfmaIndex:173  */
s_setprio 3                                        // store optimization
v_mfma_f32_16x16x16_bf16 a[116+0:119+0], v[vgprValuB_X3_I0+8+0+0:vgprValuB_X3_I0+8+0+0+1], v[vgprValuA_X3_I0+10+0+0:vgprValuA_X3_I0+10+0+0+1], a[116:119]
/*  mfmaIndex:174  */
v_mfma_f32_16x16x16_bf16 a[140+0:143+0], v[vgprValuB_X3_I0+10+0+0:vgprValuB_X3_I0+10+0+0+1], v[vgprValuA_X3_I0+10+0+0:vgprValuA_X3_I0+10+0+0+1], a[140:143]
/*  mfmaIndex:175  */
	;; [unrolled: 2-line block ×18, first 2 shown]
v_mfma_f32_16x16x16_bf16 a[168+0:171+0], v[vgprValuB_X3_I0+14+0+0:vgprValuB_X3_I0+14+0+0+1], v[vgprValuA_X3_I0+0+0+0:vgprValuA_X3_I0+0+0+0+1], a[168:171]
/* numPrefetchIter=0 */
/* dataAtIterA=2 numReadsIterA=3 skipReadsIterA=0 readsPerIterA=6 */
/* dataAtIterB=2 numReadsIterB=3 skipReadsIterB=0 readsPerIterB=8 */

PrefetchGlobalLastIterEnd_5:


/******************************************/
/* Tail Loop                              */
/******************************************/


/* local write reset offsets a */


	;; [unrolled: 1-line block ×4, first 2 shown]
/* local write reset offsets b */


	;; [unrolled: 1-line block ×4, first 2 shown]
//numIterL = (((sizeL % LOCAL_DEPTHU) + LOCAL_SPLITU - 1) / LOCAL_SPLITU)
s_and_b32 s[sgprLoopCounterL], 63, s[sgprSizesSum+0] // s[sgprLoopCounterL] = s[sgprSizesSum+0] % 64
s_cmp_eq_u32 s[sgprLoopCounterL], 0x0              // numIterL == 0
s_cbranch_scc1 SkipTailLoopL_8                     // skip to end of tail loop b/c numIter==0
s_mov_b32 s[sgprOrigLoopCounter], 0                // repurpose to count each localRead increment


/* Update M0 for DTLDS */


	;; [unrolled: 1-line block ×3, first 2 shown]
/* global read a */

/* g2l=0, load component 0 */
_buffer_load_d16_b16 v[vgprG2LA+0+0], v[vgprGlobalReadOffsetA+0], s[sgprSrdA:sgprSrdA+3], 0, offen offset:0 // load one buffer value
/* g2l=0, load component 1 */
_buffer_load_d16_hi_b16 v175, v[vgprGlobalReadOffsetA+0], s[sgprSrdA:sgprSrdA+3], 0, offen offset:2 // load one buffer value
s_waitcnt vmcnt(0)
v_or_b32 v[vgprG2LA+0+0], v[vgprG2LA+0+0], v175 // HasEccHalf: pack
/* g2l=0, load component 2 */
_buffer_load_d16_b16 v[vgprG2LA+0+1], v[vgprGlobalReadOffsetA+0], s[sgprSrdA:sgprSrdA+3], 0, offen offset:4 // load one buffer value
/* g2l=0, load component 3 */
_buffer_load_d16_hi_b16 v175, v[vgprGlobalReadOffsetA+0], s[sgprSrdA:sgprSrdA+3], 0, offen offset:6 // load one buffer value
s_waitcnt vmcnt(0)
v_or_b32 v[vgprG2LA+0+1], v[vgprG2LA+0+1], v175 // HasEccHalf: pack
/* g2l=2, load component 0 */
_buffer_load_d16_b16 v[vgprG2LA+2+0], v[vgprGlobalReadOffsetA+0], s[sgprSrdA:sgprSrdA+3], s[sgprScalarGlobalReadOffsetA+0], offen offset:0 // load one buffer value
/* g2l=2, load component 1 */
_buffer_load_d16_hi_b16 v175, v[vgprGlobalReadOffsetA+0], s[sgprSrdA:sgprSrdA+3], s[sgprScalarGlobalReadOffsetA+0], offen offset:2 // load one buffer value
s_waitcnt vmcnt(0)
v_or_b32 v[vgprG2LA+2+0], v[vgprG2LA+2+0], v175 // HasEccHalf: pack
/* g2l=2, load component 2 */
_buffer_load_d16_b16 v[vgprG2LA+2+1], v[vgprGlobalReadOffsetA+0], s[sgprSrdA:sgprSrdA+3], s[sgprScalarGlobalReadOffsetA+0], offen offset:4 // load one buffer value
/* g2l=2, load component 3 */
_buffer_load_d16_hi_b16 v175, v[vgprGlobalReadOffsetA+0], s[sgprSrdA:sgprSrdA+3], s[sgprScalarGlobalReadOffsetA+0], offen offset:6 // load one buffer value
	;; [unrolled: 6-line block ×22, first 2 shown]
s_waitcnt vmcnt(0)
v_or_b32 v[vgprG2LA+22+1], v[vgprG2LA+22+1], v175 // HasEccHalf: pack


/* Update M0 for DTLDS */


	;; [unrolled: 1-line block ×3, first 2 shown]
/* global read b */

/* g2l=0, load component 0 */
_buffer_load_d16_b16 v[vgprG2LB+0+0], v[vgprGlobalReadOffsetB+0], s[sgprSrdB:sgprSrdB+3], 0, offen offset:0 // load one buffer value
/* g2l=0, load component 1 */
_buffer_load_d16_hi_b16 v175, v[vgprGlobalReadOffsetB+0], s[sgprSrdB:sgprSrdB+3], 0, offen offset:2 // load one buffer value
s_waitcnt vmcnt(0)
v_or_b32 v[vgprG2LB+0+0], v[vgprG2LB+0+0], v175 // HasEccHalf: pack
/* g2l=0, load component 2 */
_buffer_load_d16_b16 v[vgprG2LB+0+1], v[vgprGlobalReadOffsetB+0], s[sgprSrdB:sgprSrdB+3], 0, offen offset:4 // load one buffer value
/* g2l=0, load component 3 */
_buffer_load_d16_hi_b16 v175, v[vgprGlobalReadOffsetB+0], s[sgprSrdB:sgprSrdB+3], 0, offen offset:6 // load one buffer value
s_waitcnt vmcnt(0)
v_or_b32 v[vgprG2LB+0+1], v[vgprG2LB+0+1], v175 // HasEccHalf: pack
/* g2l=0, load component 4 */
_buffer_load_d16_b16 v[vgprG2LB+0+2], v[vgprGlobalReadOffsetB+0], s[sgprSrdB:sgprSrdB+3], 0, offen offset:8 // load one buffer value
/* g2l=0, load component 5 */
_buffer_load_d16_hi_b16 v175, v[vgprGlobalReadOffsetB+0], s[sgprSrdB:sgprSrdB+3], 0, offen offset:10 // load one buffer value
s_waitcnt vmcnt(0)
v_or_b32 v[vgprG2LB+0+2], v[vgprG2LB+0+2], v175 // HasEccHalf: pack
/* g2l=0, load component 6 */
_buffer_load_d16_b16 v[vgprG2LB+0+3], v[vgprGlobalReadOffsetB+0], s[sgprSrdB:sgprSrdB+3], 0, offen offset:12 // load one buffer value
/* g2l=0, load component 7 */
_buffer_load_d16_hi_b16 v175, v[vgprGlobalReadOffsetB+0], s[sgprSrdB:sgprSrdB+3], 0, offen offset:14 // load one buffer value
s_waitcnt vmcnt(0)
v_or_b32 v[vgprG2LB+0+3], v[vgprG2LB+0+3], v175 // HasEccHalf: pack
/* g2l=4, load component 0 */
_buffer_load_d16_b16 v[vgprG2LB+4+0], v[vgprGlobalReadOffsetB+0], s[sgprSrdB:sgprSrdB+3], s[sgprScalarGlobalReadOffsetB+0], offen offset:0 // load one buffer value
/* g2l=4, load component 1 */
_buffer_load_d16_hi_b16 v175, v[vgprGlobalReadOffsetB+0], s[sgprSrdB:sgprSrdB+3], s[sgprScalarGlobalReadOffsetB+0], offen offset:2 // load one buffer value
s_waitcnt vmcnt(0)
v_or_b32 v[vgprG2LB+4+0], v[vgprG2LB+4+0], v175 // HasEccHalf: pack
/* g2l=4, load component 2 */
_buffer_load_d16_b16 v[vgprG2LB+4+1], v[vgprGlobalReadOffsetB+0], s[sgprSrdB:sgprSrdB+3], s[sgprScalarGlobalReadOffsetB+0], offen offset:4 // load one buffer value
/* g2l=4, load component 3 */
_buffer_load_d16_hi_b16 v175, v[vgprGlobalReadOffsetB+0], s[sgprSrdB:sgprSrdB+3], s[sgprScalarGlobalReadOffsetB+0], offen offset:6 // load one buffer value
s_waitcnt vmcnt(0)
v_or_b32 v[vgprG2LB+4+1], v[vgprG2LB+4+1], v175 // HasEccHalf: pack
	;; [unrolled: 6-line block ×28, first 2 shown]

s_waitcnt vmcnt(0)                                 // lgkmcnt=-1 vmcnt=02wait for global read

// Skip force waitcnt0
s_barrier //


/* Done global A/B reads */


	;; [unrolled: 1-line block ×4, first 2 shown]
/* local write a */

_ds_store_b64 v[vgprLocalWriteAddrA], v[vgprG2LA+0:vgprG2LA+0+1] offset:0 // lwoA_0_0_0_0 = (0*LSCA)*(MT0I+PAD) + (0*LSPA) = 0
_ds_store_b64 v[vgprLocalWriteAddrA], v[vgprG2LA+2:vgprG2LA+2+1] offset:2176 // lwoA_0_0_1_0 = (0*LSCA)*(MT0I+PAD) + (1*LSPA) = 2176
_ds_store_b64 v[vgprLocalWriteAddrA], v[vgprG2LA+4:vgprG2LA+4+1] offset:4352 // lwoA_0_0_2_0 = (0*LSCA)*(MT0I+PAD) + (2*LSPA) = 4352
_ds_store_b64 v[vgprLocalWriteAddrA], v[vgprG2LA+6:vgprG2LA+6+1] offset:6528 // lwoA_0_0_3_0 = (0*LSCA)*(MT0I+PAD) + (3*LSPA) = 6528
_ds_store_b64 v[vgprLocalWriteAddrA], v[vgprG2LA+8:vgprG2LA+8+1] offset:8704 // lwoA_0_0_4_0 = (0*LSCA)*(MT0I+PAD) + (4*LSPA) = 8704
_ds_store_b64 v[vgprLocalWriteAddrA], v[vgprG2LA+10:vgprG2LA+10+1] offset:10880 // lwoA_0_0_5_0 = (0*LSCA)*(MT0I+PAD) + (5*LSPA) = 10880
_ds_store_b64 v[vgprLocalWriteAddrA], v[vgprG2LA+12:vgprG2LA+12+1] offset:13056 // lwoA_0_0_6_0 = (0*LSCA)*(MT0I+PAD) + (6*LSPA) = 13056
_ds_store_b64 v[vgprLocalWriteAddrA], v[vgprG2LA+14:vgprG2LA+14+1] offset:15232 // lwoA_0_0_7_0 = (0*LSCA)*(MT0I+PAD) + (7*LSPA) = 15232
_ds_store_b64 v[vgprLocalWriteAddrA], v[vgprG2LA+16:vgprG2LA+16+1] offset:17408 // lwoA_0_0_8_0 = (0*LSCA)*(MT0I+PAD) + (8*LSPA) = 17408
_ds_store_b64 v[vgprLocalWriteAddrA], v[vgprG2LA+18:vgprG2LA+18+1] offset:19584 // lwoA_0_0_9_0 = (0*LSCA)*(MT0I+PAD) + (9*LSPA) = 19584
_ds_store_b64 v[vgprLocalWriteAddrA], v[vgprG2LA+20:vgprG2LA+20+1] offset:21760 // lwoA_0_0_10_0 = (0*LSCA)*(MT0I+PAD) + (10*LSPA) = 21760
_ds_store_b64 v[vgprLocalWriteAddrA], v[vgprG2LA+22:vgprG2LA+22+1] offset:23936 // lwoA_0_0_11_0 = (0*LSCA)*(MT0I+PAD) + (11*LSPA) = 23936


/* local write b */

_ds_store_b128 v[vgprLocalWriteAddrB], v[vgprG2LB+0:vgprG2LB+0+3] offset:0 // lwoB_0_0_0_0 = (0*LSCB)*(MT1J+PAD) + (0*LSPB) = 0
_ds_store_b128 v[vgprLocalWriteAddrB], v[vgprG2LB+4:vgprG2LB+4+3] offset:4608 // lwoB_0_0_1_0 = (0*LSCB)*(MT1J+PAD) + (1*LSPB) = 4608
_ds_store_b128 v[vgprLocalWriteAddrB], v[vgprG2LB+8:vgprG2LB+8+3] offset:9216 // lwoB_0_0_2_0 = (0*LSCB)*(MT1J+PAD) + (2*LSPB) = 9216
_ds_store_b128 v[vgprLocalWriteAddrB], v[vgprG2LB+12:vgprG2LB+12+3] offset:13824 // lwoB_0_0_3_0 = (0*LSCB)*(MT1J+PAD) + (3*LSPB) = 13824
_ds_store_b128 v[vgprLocalWriteAddrB], v[vgprG2LB+16:vgprG2LB+16+3] offset:18432 // lwoB_0_0_4_0 = (0*LSCB)*(MT1J+PAD) + (4*LSPB) = 18432
_ds_store_b128 v[vgprLocalWriteAddrB], v[vgprG2LB+20:vgprG2LB+20+3] offset:23040 // lwoB_0_0_5_0 = (0*LSCB)*(MT1J+PAD) + (5*LSPB) = 23040
_ds_store_b128 v[vgprLocalWriteAddrB], v[vgprG2LB+24:vgprG2LB+24+3] offset:27648 // lwoB_0_0_6_0 = (0*LSCB)*(MT1J+PAD) + (6*LSPB) = 27648
_ds_store_b128 v[vgprLocalWriteAddrB], v[vgprG2LB+28:vgprG2LB+28+3] offset:32256 // lwoB_0_0_7_0 = (0*LSCB)*(MT1J+PAD) + (7*LSPB) = 32256


/* Recalc local read offsets */


s_waitcnt lgkmcnt(0)                               // lgkmcnt=0 vmcnt=-15wait for local write

// Skip force waitcnt0
s_barrier //


/* local read reset offsets a */


	;; [unrolled: 1-line block ×3, first 2 shown]
/* local read reset offsets b */


	;; [unrolled: 1-line block ×3, first 2 shown]
/* local read init pointers a */


/* localReadInitPointers */


/* local read init pointers b */


/* localReadInitPointers */


/* tail loop: macs */

TailLoopBeginL_6:


/* tail loop unroll iter 0 */


/* local read a */

_ds_load_b64 v[vgprValuA_X0_I0+0:vgprValuA_X0_I0+0+1], v[vgprLocalReadAddrA] offset:0 // L -> Reg lro=0 swapByteOffset=0 ti=32 vIdx=0 rIdx=0 oIdx=0 buffer=0 iui=0
_ds_load_b64 v[vgprValuA_X0_I0+2:vgprValuA_X0_I0+2+1], v[vgprLocalReadAddrA] offset:4352 // L -> Reg lro=0 swapByteOffset=0 ti=32 vIdx=1 rIdx=0 oIdx=0 buffer=0 iui=0
	;; [unrolled: 1-line block ×6, first 2 shown]


/* local read b */

_ds_load_b64 v[vgprValuB_X0_I0+0:vgprValuB_X0_I0+0+1], v[vgprLocalReadAddrB] offset:0 // L -> Reg lro=0 swapByteOffset=0 ti=32 vIdx=0 rIdx=0 oIdx=0 buffer=0 iui=0
_ds_load_b64 v[vgprValuB_X0_I0+2:vgprValuB_X0_I0+2+1], v[vgprLocalReadAddrB] offset:4608 // L -> Reg lro=0 swapByteOffset=0 ti=32 vIdx=1 rIdx=0 oIdx=0 buffer=0 iui=0
	;; [unrolled: 1-line block ×8, first 2 shown]


/* local read inc a */

s_mov_b32 s31, 0x20                                // inc
_v_add_co_u32 v[vgprLocalReadAddrA], vcc, s31, v[vgprLocalReadAddrA] // lrA += 32 (LSU*bpe)


/* local read inc b */

s_mov_b32 s31, 0x20                                // inc
_v_add_co_u32 v[vgprLocalReadAddrB], vcc, s31, v[vgprLocalReadAddrB] // lrB += 32 (LSU*bpe)

s_waitcnt lgkmcnt(0)                               // lgkmcnt=0 vmcnt=-14wait for local read


	;; [unrolled: 1-line block ×3, first 2 shown]
/* tail loop mfma iter 0: numReadsIterCoalescedA=1, numReadsIterCoalescedB=1 */
v_and_b32 v175, 63, v[vgprSerial]                  // v175 = v[vgprSerial] % 64
v_lshrrev_b32 v175, 4, v175                        // v175 = v175 / 16
v_lshlrev_b32 v175, 0x2, v175                      // v175 = v175 * 4
v_cmp_ge_i32 s[32:33], v175, s[sgprLoopCounterL]   // check K index >= Size L
v_cndmask_b32 v[vgprValuA_X0_I0+0+0+0+0], v[vgprValuA_X0_I0+0+0+0+0], 0x0, s[32:33] // set 0 if K_idx >= sizeL
v_cndmask_b32 v[vgprValuA_X0_I0+2+0+0+0], v[vgprValuA_X0_I0+2+0+0+0], 0x0, s[32:33] // set 0 if K_idx >= sizeL
	;; [unrolled: 1-line block ×6, first 2 shown]
v_cndmask_b32 v[vgprValuB_X0_I0+0+0+0+0], v[vgprValuB_X0_I0+0+0+0+0], 0x0, s[32:33] // set 0 if K_idx >= sizeL
v_cndmask_b32 v[vgprValuB_X0_I0+2+0+0+0], v[vgprValuB_X0_I0+2+0+0+0], 0x0, s[32:33] // set 0 if K_idx >= sizeL
	;; [unrolled: 1-line block ×8, first 2 shown]
v_cndmask_b32 v[vgprValuA_X0_I0+0+0+0+1], v[vgprValuA_X0_I0+0+0+0+1], 0x0, s[32:33] // set 0 if K_idx >= sizeL
v_cndmask_b32 v[vgprValuA_X0_I0+2+0+0+1], v[vgprValuA_X0_I0+2+0+0+1], 0x0, s[32:33] // set 0 if K_idx >= sizeL
	;; [unrolled: 1-line block ×6, first 2 shown]
v_cndmask_b32 v[vgprValuB_X0_I0+0+0+0+1], v[vgprValuB_X0_I0+0+0+0+1], 0x0, s[32:33] // set 0 if K_idx >= sizeL
v_cndmask_b32 v[vgprValuB_X0_I0+2+0+0+1], v[vgprValuB_X0_I0+2+0+0+1], 0x0, s[32:33] // set 0 if K_idx >= sizeL
	;; [unrolled: 1-line block ×8, first 2 shown]
_v_sub_u32 v175, s[sgprLoopCounterL], v175         // get distance between size and k index
v_cmp_lt_i32 s[32:33], v175, 4                     // set partial 0 if distance less than input per thread
s_and_b32 s34, s[sgprLoopCounterL], 3              // get inputs for edge thread
s_sub_u32 s34, 4, s34                              // use shift to fill 0 for outside element
s_lshl_b32 s34, s34, 4                             // use shift to fill 0 for outside element
v_mov_b32 v176, -1                                 // set 0xffffffff
v_mov_b32 v177, -1                                 // set 0xffffffff
v_lshrrev_b64 v[176:177], s34, v[176:177]          // rshift mask for partial k
v_cndmask_b32 v176, -1, v176, s[32:33]             // select shifted mask for partial k
v_cndmask_b32 v177, -1, v177, s[32:33]             // select shifted mask for partial k
v_and_b32 v[vgprValuA_X0_I0+0+0+0+0], v[vgprValuA_X0_I0+0+0+0+0], v176 // 
v_and_b32 v[vgprValuA_X0_I0+0+0+0+1], v[vgprValuA_X0_I0+0+0+0+1], v177 // 
	;; [unrolled: 1-line block ×12, first 2 shown]
v_and_b32 v[vgprValuB_X0_I0+0+0+0+0], v[vgprValuB_X0_I0+0+0+0+0], v176 // 
v_and_b32 v[vgprValuB_X0_I0+0+0+0+1], v[vgprValuB_X0_I0+0+0+0+1], v177 // 
	;; [unrolled: 1-line block ×16, first 2 shown]
s_nop 1
v_mfma_f32_16x16x16_bf16 a[0+0:3+0], v[vgprValuB_X0_I0+0+0+0:vgprValuB_X0_I0+0+0+0+1], v[vgprValuA_X0_I0+0+0+0:vgprValuA_X0_I0+0+0+0+1], a[0:3]
v_mfma_f32_16x16x16_bf16 a[4+0:7+0], v[vgprValuB_X0_I0+0+0+0:vgprValuB_X0_I0+0+0+0+1], v[vgprValuA_X0_I0+2+0+0:vgprValuA_X0_I0+2+0+0+1], a[4:7]
	;; [unrolled: 1-line block ×48, first 2 shown]


/* closeLoop loopL finalLoop=0 tailLoop=1 */
s_sub_i32 s[sgprLoopCounterL], s[sgprLoopCounterL], 0x10 // dec counterL (tailLoop)
s_add_u32 s[sgprOrigLoopCounter], s[sgprOrigLoopCounter], 0x10 // inc counterL
s_cmp_le_i32 s[sgprLoopCounterL], 0x0              // counterL<=0
s_cbranch_scc1 TailLoopEndL_7                      // exit LoopL


/* tail loop unroll iter 1 */


/* local read a */

_ds_load_b64 v[vgprValuA_X1_I0+0:vgprValuA_X1_I0+0+1], v[vgprLocalReadAddrA] offset:0 // L -> Reg lro=0 swapByteOffset=0 ti=32 vIdx=0 rIdx=0 oIdx=0 buffer=1 iui=0
_ds_load_b64 v[vgprValuA_X1_I0+2:vgprValuA_X1_I0+2+1], v[vgprLocalReadAddrA] offset:4352 // L -> Reg lro=0 swapByteOffset=0 ti=32 vIdx=1 rIdx=0 oIdx=0 buffer=1 iui=0
	;; [unrolled: 1-line block ×6, first 2 shown]


/* local read b */

_ds_load_b64 v[vgprValuB_X1_I0+0:vgprValuB_X1_I0+0+1], v[vgprLocalReadAddrB] offset:0 // L -> Reg lro=0 swapByteOffset=0 ti=32 vIdx=0 rIdx=0 oIdx=0 buffer=1 iui=0
_ds_load_b64 v[vgprValuB_X1_I0+2:vgprValuB_X1_I0+2+1], v[vgprLocalReadAddrB] offset:4608 // L -> Reg lro=0 swapByteOffset=0 ti=32 vIdx=1 rIdx=0 oIdx=0 buffer=1 iui=0
	;; [unrolled: 1-line block ×8, first 2 shown]


/* local read inc a */

s_mov_b32 s31, 0x20                                // inc
_v_add_co_u32 v[vgprLocalReadAddrA], vcc, s31, v[vgprLocalReadAddrA] // lrA += 32 (LSU*bpe)


/* local read inc b */

s_mov_b32 s31, 0x20                                // inc
_v_add_co_u32 v[vgprLocalReadAddrB], vcc, s31, v[vgprLocalReadAddrB] // lrB += 32 (LSU*bpe)

s_waitcnt lgkmcnt(0)                               // lgkmcnt=0 vmcnt=-14wait for local read



/* tail loop mfma iter 1: numReadsIterCoalescedA=1, numReadsIterCoalescedB=1 */
v_and_b32 v175, 63, v[vgprSerial]                  // v175 = v[vgprSerial] % 64
v_lshrrev_b32 v175, 4, v175                        // v175 = v175 / 16
v_lshlrev_b32 v175, 0x2, v175                      // v175 = v175 * 4
v_cmp_ge_i32 s[32:33], v175, s[sgprLoopCounterL]   // check K index >= Size L
v_cndmask_b32 v[vgprValuA_X1_I0+0+0+0+0], v[vgprValuA_X1_I0+0+0+0+0], 0x0, s[32:33] // set 0 if K_idx >= sizeL
v_cndmask_b32 v[vgprValuA_X1_I0+2+0+0+0], v[vgprValuA_X1_I0+2+0+0+0], 0x0, s[32:33] // set 0 if K_idx >= sizeL
	;; [unrolled: 1-line block ×6, first 2 shown]
v_cndmask_b32 v[vgprValuB_X1_I0+0+0+0+0], v[vgprValuB_X1_I0+0+0+0+0], 0x0, s[32:33] // set 0 if K_idx >= sizeL
v_cndmask_b32 v[vgprValuB_X1_I0+2+0+0+0], v[vgprValuB_X1_I0+2+0+0+0], 0x0, s[32:33] // set 0 if K_idx >= sizeL
	;; [unrolled: 1-line block ×8, first 2 shown]
v_cndmask_b32 v[vgprValuA_X1_I0+0+0+0+1], v[vgprValuA_X1_I0+0+0+0+1], 0x0, s[32:33] // set 0 if K_idx >= sizeL
v_cndmask_b32 v[vgprValuA_X1_I0+2+0+0+1], v[vgprValuA_X1_I0+2+0+0+1], 0x0, s[32:33] // set 0 if K_idx >= sizeL
	;; [unrolled: 1-line block ×6, first 2 shown]
v_cndmask_b32 v[vgprValuB_X1_I0+0+0+0+1], v[vgprValuB_X1_I0+0+0+0+1], 0x0, s[32:33] // set 0 if K_idx >= sizeL
v_cndmask_b32 v[vgprValuB_X1_I0+2+0+0+1], v[vgprValuB_X1_I0+2+0+0+1], 0x0, s[32:33] // set 0 if K_idx >= sizeL
	;; [unrolled: 1-line block ×8, first 2 shown]
_v_sub_u32 v175, s[sgprLoopCounterL], v175         // get distance between size and k index
v_cmp_lt_i32 s[32:33], v175, 4                     // set partial 0 if distance less than input per thread
s_and_b32 s34, s[sgprLoopCounterL], 3              // get inputs for edge thread
s_sub_u32 s34, 4, s34                              // use shift to fill 0 for outside element
s_lshl_b32 s34, s34, 4                             // use shift to fill 0 for outside element
v_mov_b32 v176, -1                                 // set 0xffffffff
v_mov_b32 v177, -1                                 // set 0xffffffff
v_lshrrev_b64 v[176:177], s34, v[176:177]          // rshift mask for partial k
v_cndmask_b32 v176, -1, v176, s[32:33]             // select shifted mask for partial k
v_cndmask_b32 v177, -1, v177, s[32:33]             // select shifted mask for partial k
v_and_b32 v[vgprValuA_X1_I0+0+0+0+0], v[vgprValuA_X1_I0+0+0+0+0], v176 // 
v_and_b32 v[vgprValuA_X1_I0+0+0+0+1], v[vgprValuA_X1_I0+0+0+0+1], v177 // 
v_and_b32 v[vgprValuA_X1_I0+2+0+0+0], v[vgprValuA_X1_I0+2+0+0+0], v176 // 
v_and_b32 v[vgprValuA_X1_I0+2+0+0+1], v[vgprValuA_X1_I0+2+0+0+1], v177 // 
v_and_b32 v[vgprValuA_X1_I0+4+0+0+0], v[vgprValuA_X1_I0+4+0+0+0], v176 // 
v_and_b32 v[vgprValuA_X1_I0+4+0+0+1], v[vgprValuA_X1_I0+4+0+0+1], v177 // 
v_and_b32 v[vgprValuA_X1_I0+6+0+0+0], v[vgprValuA_X1_I0+6+0+0+0], v176 // 
v_and_b32 v[vgprValuA_X1_I0+6+0+0+1], v[vgprValuA_X1_I0+6+0+0+1], v177 // 
v_and_b32 v[vgprValuA_X1_I0+8+0+0+0], v[vgprValuA_X1_I0+8+0+0+0], v176 // 
v_and_b32 v[vgprValuA_X1_I0+8+0+0+1], v[vgprValuA_X1_I0+8+0+0+1], v177 // 
v_and_b32 v[vgprValuA_X1_I0+10+0+0+0], v[vgprValuA_X1_I0+10+0+0+0], v176 // 
v_and_b32 v[vgprValuA_X1_I0+10+0+0+1], v[vgprValuA_X1_I0+10+0+0+1], v177 // 
v_and_b32 v[vgprValuB_X1_I0+0+0+0+0], v[vgprValuB_X1_I0+0+0+0+0], v176 // 
v_and_b32 v[vgprValuB_X1_I0+0+0+0+1], v[vgprValuB_X1_I0+0+0+0+1], v177 // 
	;; [unrolled: 1-line block ×16, first 2 shown]
s_nop 1
v_mfma_f32_16x16x16_bf16 a[0+0:3+0], v[vgprValuB_X1_I0+0+0+0:vgprValuB_X1_I0+0+0+0+1], v[vgprValuA_X1_I0+0+0+0:vgprValuA_X1_I0+0+0+0+1], a[0:3]
v_mfma_f32_16x16x16_bf16 a[4+0:7+0], v[vgprValuB_X1_I0+0+0+0:vgprValuB_X1_I0+0+0+0+1], v[vgprValuA_X1_I0+2+0+0:vgprValuA_X1_I0+2+0+0+1], a[4:7]
	;; [unrolled: 1-line block ×48, first 2 shown]


/* closeLoop loopL finalLoop=0 tailLoop=1 */
s_sub_i32 s[sgprLoopCounterL], s[sgprLoopCounterL], 0x10 // dec counterL (tailLoop)
s_add_u32 s[sgprOrigLoopCounter], s[sgprOrigLoopCounter], 0x10 // inc counterL
s_cmp_le_i32 s[sgprLoopCounterL], 0x0              // counterL<=0
s_cbranch_scc1 TailLoopEndL_7                      // exit LoopL


/* tail loop unroll iter 2 */


/* local read a */

_ds_load_b64 v[vgprValuA_X2_I0+0:vgprValuA_X2_I0+0+1], v[vgprLocalReadAddrA] offset:0 // L -> Reg lro=0 swapByteOffset=0 ti=32 vIdx=0 rIdx=0 oIdx=0 buffer=2 iui=0
_ds_load_b64 v[vgprValuA_X2_I0+2:vgprValuA_X2_I0+2+1], v[vgprLocalReadAddrA] offset:4352 // L -> Reg lro=0 swapByteOffset=0 ti=32 vIdx=1 rIdx=0 oIdx=0 buffer=2 iui=0
	;; [unrolled: 1-line block ×6, first 2 shown]


/* local read b */

_ds_load_b64 v[vgprValuB_X2_I0+0:vgprValuB_X2_I0+0+1], v[vgprLocalReadAddrB] offset:0 // L -> Reg lro=0 swapByteOffset=0 ti=32 vIdx=0 rIdx=0 oIdx=0 buffer=2 iui=0
_ds_load_b64 v[vgprValuB_X2_I0+2:vgprValuB_X2_I0+2+1], v[vgprLocalReadAddrB] offset:4608 // L -> Reg lro=0 swapByteOffset=0 ti=32 vIdx=1 rIdx=0 oIdx=0 buffer=2 iui=0
	;; [unrolled: 1-line block ×8, first 2 shown]


/* local read inc a */

s_mov_b32 s31, 0x20                                // inc
_v_add_co_u32 v[vgprLocalReadAddrA], vcc, s31, v[vgprLocalReadAddrA] // lrA += 32 (LSU*bpe)


/* local read inc b */

s_mov_b32 s31, 0x20                                // inc
_v_add_co_u32 v[vgprLocalReadAddrB], vcc, s31, v[vgprLocalReadAddrB] // lrB += 32 (LSU*bpe)

s_waitcnt lgkmcnt(0)                               // lgkmcnt=0 vmcnt=-14wait for local read


	;; [unrolled: 1-line block ×3, first 2 shown]
/* tail loop mfma iter 2: numReadsIterCoalescedA=1, numReadsIterCoalescedB=1 */
v_and_b32 v175, 63, v[vgprSerial]                  // v175 = v[vgprSerial] % 64
v_lshrrev_b32 v175, 4, v175                        // v175 = v175 / 16
v_lshlrev_b32 v175, 0x2, v175                      // v175 = v175 * 4
v_cmp_ge_i32 s[32:33], v175, s[sgprLoopCounterL]   // check K index >= Size L
v_cndmask_b32 v[vgprValuA_X2_I0+0+0+0+0], v[vgprValuA_X2_I0+0+0+0+0], 0x0, s[32:33] // set 0 if K_idx >= sizeL
v_cndmask_b32 v[vgprValuA_X2_I0+2+0+0+0], v[vgprValuA_X2_I0+2+0+0+0], 0x0, s[32:33] // set 0 if K_idx >= sizeL
	;; [unrolled: 1-line block ×6, first 2 shown]
v_cndmask_b32 v[vgprValuB_X2_I0+0+0+0+0], v[vgprValuB_X2_I0+0+0+0+0], 0x0, s[32:33] // set 0 if K_idx >= sizeL
v_cndmask_b32 v[vgprValuB_X2_I0+2+0+0+0], v[vgprValuB_X2_I0+2+0+0+0], 0x0, s[32:33] // set 0 if K_idx >= sizeL
	;; [unrolled: 1-line block ×8, first 2 shown]
v_cndmask_b32 v[vgprValuA_X2_I0+0+0+0+1], v[vgprValuA_X2_I0+0+0+0+1], 0x0, s[32:33] // set 0 if K_idx >= sizeL
v_cndmask_b32 v[vgprValuA_X2_I0+2+0+0+1], v[vgprValuA_X2_I0+2+0+0+1], 0x0, s[32:33] // set 0 if K_idx >= sizeL
	;; [unrolled: 1-line block ×6, first 2 shown]
v_cndmask_b32 v[vgprValuB_X2_I0+0+0+0+1], v[vgprValuB_X2_I0+0+0+0+1], 0x0, s[32:33] // set 0 if K_idx >= sizeL
v_cndmask_b32 v[vgprValuB_X2_I0+2+0+0+1], v[vgprValuB_X2_I0+2+0+0+1], 0x0, s[32:33] // set 0 if K_idx >= sizeL
	;; [unrolled: 1-line block ×8, first 2 shown]
_v_sub_u32 v175, s[sgprLoopCounterL], v175         // get distance between size and k index
v_cmp_lt_i32 s[32:33], v175, 4                     // set partial 0 if distance less than input per thread
s_and_b32 s34, s[sgprLoopCounterL], 3              // get inputs for edge thread
s_sub_u32 s34, 4, s34                              // use shift to fill 0 for outside element
s_lshl_b32 s34, s34, 4                             // use shift to fill 0 for outside element
v_mov_b32 v176, -1                                 // set 0xffffffff
v_mov_b32 v177, -1                                 // set 0xffffffff
v_lshrrev_b64 v[176:177], s34, v[176:177]          // rshift mask for partial k
v_cndmask_b32 v176, -1, v176, s[32:33]             // select shifted mask for partial k
v_cndmask_b32 v177, -1, v177, s[32:33]             // select shifted mask for partial k
v_and_b32 v[vgprValuA_X2_I0+0+0+0+0], v[vgprValuA_X2_I0+0+0+0+0], v176 // 
v_and_b32 v[vgprValuA_X2_I0+0+0+0+1], v[vgprValuA_X2_I0+0+0+0+1], v177 // 
	;; [unrolled: 1-line block ×12, first 2 shown]
v_and_b32 v[vgprValuB_X2_I0+0+0+0+0], v[vgprValuB_X2_I0+0+0+0+0], v176 // 
v_and_b32 v[vgprValuB_X2_I0+0+0+0+1], v[vgprValuB_X2_I0+0+0+0+1], v177 // 
	;; [unrolled: 1-line block ×16, first 2 shown]
s_nop 1
v_mfma_f32_16x16x16_bf16 a[0+0:3+0], v[vgprValuB_X2_I0+0+0+0:vgprValuB_X2_I0+0+0+0+1], v[vgprValuA_X2_I0+0+0+0:vgprValuA_X2_I0+0+0+0+1], a[0:3]
v_mfma_f32_16x16x16_bf16 a[4+0:7+0], v[vgprValuB_X2_I0+0+0+0:vgprValuB_X2_I0+0+0+0+1], v[vgprValuA_X2_I0+2+0+0:vgprValuA_X2_I0+2+0+0+1], a[4:7]
	;; [unrolled: 1-line block ×48, first 2 shown]


/* closeLoop loopL finalLoop=0 tailLoop=1 */
s_sub_i32 s[sgprLoopCounterL], s[sgprLoopCounterL], 0x10 // dec counterL (tailLoop)
s_add_u32 s[sgprOrigLoopCounter], s[sgprOrigLoopCounter], 0x10 // inc counterL
s_cmp_le_i32 s[sgprLoopCounterL], 0x0              // counterL<=0
s_cbranch_scc1 TailLoopEndL_7                      // exit LoopL


/* tail loop unroll iter 3 */


/* local read a */

_ds_load_b64 v[vgprValuA_X3_I0+0:vgprValuA_X3_I0+0+1], v[vgprLocalReadAddrA] offset:0 // L -> Reg lro=0 swapByteOffset=0 ti=32 vIdx=0 rIdx=0 oIdx=0 buffer=3 iui=0
_ds_load_b64 v[vgprValuA_X3_I0+2:vgprValuA_X3_I0+2+1], v[vgprLocalReadAddrA] offset:4352 // L -> Reg lro=0 swapByteOffset=0 ti=32 vIdx=1 rIdx=0 oIdx=0 buffer=3 iui=0
_ds_load_b64 v[vgprValuA_X3_I0+4:vgprValuA_X3_I0+4+1], v[vgprLocalReadAddrA] offset:8704 // L -> Reg lro=0 swapByteOffset=0 ti=32 vIdx=2 rIdx=0 oIdx=0 buffer=3 iui=0
_ds_load_b64 v[vgprValuA_X3_I0+6:vgprValuA_X3_I0+6+1], v[vgprLocalReadAddrA] offset:13056 // L -> Reg lro=0 swapByteOffset=0 ti=32 vIdx=3 rIdx=0 oIdx=0 buffer=3 iui=0
_ds_load_b64 v[vgprValuA_X3_I0+8:vgprValuA_X3_I0+8+1], v[vgprLocalReadAddrA] offset:17408 // L -> Reg lro=0 swapByteOffset=0 ti=32 vIdx=4 rIdx=0 oIdx=0 buffer=3 iui=0
_ds_load_b64 v[vgprValuA_X3_I0+10:vgprValuA_X3_I0+10+1], v[vgprLocalReadAddrA] offset:21760 // L -> Reg lro=0 swapByteOffset=0 ti=32 vIdx=5 rIdx=0 oIdx=0 buffer=3 iui=0


/* local read b */

_ds_load_b64 v[vgprValuB_X3_I0+0:vgprValuB_X3_I0+0+1], v[vgprLocalReadAddrB] offset:0 // L -> Reg lro=0 swapByteOffset=0 ti=32 vIdx=0 rIdx=0 oIdx=0 buffer=3 iui=0
_ds_load_b64 v[vgprValuB_X3_I0+2:vgprValuB_X3_I0+2+1], v[vgprLocalReadAddrB] offset:4608 // L -> Reg lro=0 swapByteOffset=0 ti=32 vIdx=1 rIdx=0 oIdx=0 buffer=3 iui=0
	;; [unrolled: 1-line block ×8, first 2 shown]


/* local read inc a */

s_mov_b32 s31, 0x28                                // inc
_v_add_co_u32 v[vgprLocalReadAddrA], vcc, s31, v[vgprLocalReadAddrA] // lrA += 40 (LSU*bpe)


/* local read inc b */

s_mov_b32 s31, 0x30                                // inc
_v_add_co_u32 v[vgprLocalReadAddrB], vcc, s31, v[vgprLocalReadAddrB] // lrB += 48 (LSU*bpe)

s_waitcnt lgkmcnt(0)                               // lgkmcnt=0 vmcnt=-14wait for local read


	;; [unrolled: 1-line block ×3, first 2 shown]
/* tail loop mfma iter 3: numReadsIterCoalescedA=1, numReadsIterCoalescedB=1 */
v_and_b32 v175, 63, v[vgprSerial]                  // v175 = v[vgprSerial] % 64
v_lshrrev_b32 v175, 4, v175                        // v175 = v175 / 16
v_lshlrev_b32 v175, 0x2, v175                      // v175 = v175 * 4
v_cmp_ge_i32 s[32:33], v175, s[sgprLoopCounterL]   // check K index >= Size L
v_cndmask_b32 v[vgprValuA_X3_I0+0+0+0+0], v[vgprValuA_X3_I0+0+0+0+0], 0x0, s[32:33] // set 0 if K_idx >= sizeL
v_cndmask_b32 v[vgprValuA_X3_I0+2+0+0+0], v[vgprValuA_X3_I0+2+0+0+0], 0x0, s[32:33] // set 0 if K_idx >= sizeL
	;; [unrolled: 1-line block ×6, first 2 shown]
v_cndmask_b32 v[vgprValuB_X3_I0+0+0+0+0], v[vgprValuB_X3_I0+0+0+0+0], 0x0, s[32:33] // set 0 if K_idx >= sizeL
v_cndmask_b32 v[vgprValuB_X3_I0+2+0+0+0], v[vgprValuB_X3_I0+2+0+0+0], 0x0, s[32:33] // set 0 if K_idx >= sizeL
	;; [unrolled: 1-line block ×8, first 2 shown]
v_cndmask_b32 v[vgprValuA_X3_I0+0+0+0+1], v[vgprValuA_X3_I0+0+0+0+1], 0x0, s[32:33] // set 0 if K_idx >= sizeL
v_cndmask_b32 v[vgprValuA_X3_I0+2+0+0+1], v[vgprValuA_X3_I0+2+0+0+1], 0x0, s[32:33] // set 0 if K_idx >= sizeL
v_cndmask_b32 v[vgprValuA_X3_I0+4+0+0+1], v[vgprValuA_X3_I0+4+0+0+1], 0x0, s[32:33] // set 0 if K_idx >= sizeL
v_cndmask_b32 v[vgprValuA_X3_I0+6+0+0+1], v[vgprValuA_X3_I0+6+0+0+1], 0x0, s[32:33] // set 0 if K_idx >= sizeL
v_cndmask_b32 v[vgprValuA_X3_I0+8+0+0+1], v[vgprValuA_X3_I0+8+0+0+1], 0x0, s[32:33] // set 0 if K_idx >= sizeL
v_cndmask_b32 v[vgprValuA_X3_I0+10+0+0+1], v[vgprValuA_X3_I0+10+0+0+1], 0x0, s[32:33] // set 0 if K_idx >= sizeL
v_cndmask_b32 v[vgprValuB_X3_I0+0+0+0+1], v[vgprValuB_X3_I0+0+0+0+1], 0x0, s[32:33] // set 0 if K_idx >= sizeL
v_cndmask_b32 v[vgprValuB_X3_I0+2+0+0+1], v[vgprValuB_X3_I0+2+0+0+1], 0x0, s[32:33] // set 0 if K_idx >= sizeL
	;; [unrolled: 1-line block ×8, first 2 shown]
_v_sub_u32 v175, s[sgprLoopCounterL], v175         // get distance between size and k index
v_cmp_lt_i32 s[32:33], v175, 4                     // set partial 0 if distance less than input per thread
s_and_b32 s34, s[sgprLoopCounterL], 3              // get inputs for edge thread
s_sub_u32 s34, 4, s34                              // use shift to fill 0 for outside element
s_lshl_b32 s34, s34, 4                             // use shift to fill 0 for outside element
v_mov_b32 v176, -1                                 // set 0xffffffff
v_mov_b32 v177, -1                                 // set 0xffffffff
v_lshrrev_b64 v[176:177], s34, v[176:177]          // rshift mask for partial k
v_cndmask_b32 v176, -1, v176, s[32:33]             // select shifted mask for partial k
v_cndmask_b32 v177, -1, v177, s[32:33]             // select shifted mask for partial k
v_and_b32 v[vgprValuA_X3_I0+0+0+0+0], v[vgprValuA_X3_I0+0+0+0+0], v176 // 
v_and_b32 v[vgprValuA_X3_I0+0+0+0+1], v[vgprValuA_X3_I0+0+0+0+1], v177 // 
v_and_b32 v[vgprValuA_X3_I0+2+0+0+0], v[vgprValuA_X3_I0+2+0+0+0], v176 // 
v_and_b32 v[vgprValuA_X3_I0+2+0+0+1], v[vgprValuA_X3_I0+2+0+0+1], v177 // 
v_and_b32 v[vgprValuA_X3_I0+4+0+0+0], v[vgprValuA_X3_I0+4+0+0+0], v176 // 
v_and_b32 v[vgprValuA_X3_I0+4+0+0+1], v[vgprValuA_X3_I0+4+0+0+1], v177 // 
v_and_b32 v[vgprValuA_X3_I0+6+0+0+0], v[vgprValuA_X3_I0+6+0+0+0], v176 // 
v_and_b32 v[vgprValuA_X3_I0+6+0+0+1], v[vgprValuA_X3_I0+6+0+0+1], v177 // 
v_and_b32 v[vgprValuA_X3_I0+8+0+0+0], v[vgprValuA_X3_I0+8+0+0+0], v176 // 
v_and_b32 v[vgprValuA_X3_I0+8+0+0+1], v[vgprValuA_X3_I0+8+0+0+1], v177 // 
v_and_b32 v[vgprValuA_X3_I0+10+0+0+0], v[vgprValuA_X3_I0+10+0+0+0], v176 // 
v_and_b32 v[vgprValuA_X3_I0+10+0+0+1], v[vgprValuA_X3_I0+10+0+0+1], v177 // 
v_and_b32 v[vgprValuB_X3_I0+0+0+0+0], v[vgprValuB_X3_I0+0+0+0+0], v176 // 
v_and_b32 v[vgprValuB_X3_I0+0+0+0+1], v[vgprValuB_X3_I0+0+0+0+1], v177 // 
	;; [unrolled: 1-line block ×16, first 2 shown]
s_nop 1
v_mfma_f32_16x16x16_bf16 a[0+0:3+0], v[vgprValuB_X3_I0+0+0+0:vgprValuB_X3_I0+0+0+0+1], v[vgprValuA_X3_I0+0+0+0:vgprValuA_X3_I0+0+0+0+1], a[0:3]
v_mfma_f32_16x16x16_bf16 a[4+0:7+0], v[vgprValuB_X3_I0+0+0+0:vgprValuB_X3_I0+0+0+0+1], v[vgprValuA_X3_I0+2+0+0:vgprValuA_X3_I0+2+0+0+1], a[4:7]
	;; [unrolled: 1-line block ×48, first 2 shown]


/* closeLoop loopL finalLoop=1 tailLoop=1 */
s_sub_i32 s[sgprLoopCounterL], s[sgprLoopCounterL], 0x10 // dec counterL (tailLoop)
s_add_u32 s[sgprOrigLoopCounter], s[sgprOrigLoopCounter], 0x10 // inc counterL
s_cmp_le_i32 s[sgprLoopCounterL], 0x0              // counterL<=0
s_cbranch_scc0 TailLoopBeginL_6                    // restart LoopL
TailLoopEndL_7:

SkipTailLoopL_8:

Summation_End_30:
s_setprio 0                                        // optimization store
/* endSummation: add vgpr [0...172) to pool */
.set NumFullBlocks, UNDEF
.set WgmRemainder1, UNDEF
.set MagicNumberWgmRemainder1, UNDEF
.set ScalarGlobalReadOffsetA, UNDEF
.set ScalarGlobalReadOffsetB, UNDEF

/* Mapping of Acc register -> C Vgpr register */


	;; [unrolled: 1-line block ×3, first 2 shown]
/* not-LocalSplitU: global write indices */

/* computeStoreVgprs */
v_lshrrev_b32 v4, 6, v[vgprSerial]                 // v4 = v[vgprSerial] / 64
v_and_b32 v1, 63, v[vgprSerial]                    // v1 = v[vgprSerial] % 64
v_lshrrev_b32 v1, 4, v1                            // v1 = v1 / 16
v_lshlrev_b32 v1, 0x2, v1                          // thread0 * continuous_output
v_lshrrev_b32 v5, 1, v4                            // v5 = v4 / 2
v_mul_lo_u32 v5, 0x10, v5                          // wave coordination offset 1
_v_add_lshl_u32 v1, v5, v1, 0                      // coordination 1 = vwb *(wave_id1 + tid1)
v_mul_lo_u32 v2, v1, s[sgprStrideC1J]              //  offset 1
v_mul_lo_u32 v3, v1, s[sgprStrideD1J]              //  offset 1
v_and_b32 v5, 1, v4                                // v5 = v4 % 2
v_mul_lo_u32 v5, 0x10, v5                          // wave coordination offset 0
v_and_b32 v0, 15, v[vgprSerial]                    // v0 = v[vgprSerial] % 16
_v_add_lshl_u32 v0, v5, v0, 0                      // coordination 0 = vwa *(wave_id0 + tid0)
s_mul_i32 s31, 192, s[sgprWorkGroup0]              // wgp0 * MT0
_v_add_u32 v0, s31, v0                             // coord 0 = (tid0/MI_m)*4 + waveG0*MIB_m + MT0*SG0
s_mul_i32 s31, 256, s[sgprWorkGroup1]              // wgp1 * MT1
_v_add_u32 v1, s31, v1                             // coord 1 = (tid0%MI_m) + waveG1*MIB_n + MT1*SG1


/* not-LocalSplitU: global write */

s_cmpk_eq_u32 s[sgprBeta], 0x0                     // Beta == 0
s_cbranch_scc0 GW_Beta_45                          // Branch if Beta is not zero

s_mov_b32 s35, 0x0                                 // STATIC_DIV: divisior=192
s_mul_i32 s34, 0x2aa, s[sgprSizeI]                 // tmp1 = dividend * magic hi
s_lshl_b64 s[34:35], s[34:35], 0x10                // left shift 16 bits
s_mul_i32 s33, s[sgprSizeI], 0xaaab                // tmp0 = dividend * magic lo
s_add_u32 s34, s33, s34                            // add lo
s_addc_u32 s35, s35, 0x0                           // add hi
s_lshr_b64 s[34:35], s[34:35], 0x21                // tmp1 = (dividend * magic) << shift
s_mov_b32 s33, s34                                 // quotient
s_mul_i32 s34, s33, 0xc0                           // quotient*divisor
s_sub_u32 s32, s[sgprSizeI], s34                   // rReg = dividend - quotient*divisor
s_add_u32 s33, -0x1, s[sgprNumWorkGroups0]         // 
s_cmp_ge_u32 s[sgprWorkGroup0], s33                // wg0 >= nwg0-1 ?
s_cselect_b32 s32, s32, 0                          // set rMT0
s_cmpk_gt_u32 s32, 0x0                             // rMT0 > 0
s_cbranch_scc1 GW_B0_E1_36                         // jump if edges required
s_and_b32 s32, 255, s[sgprSizeJ]                   // s32 = s[sgprSizeJ] % 256
s_add_u32 s33, -0x1, s[sgprNumWorkGroups1]         // 
s_cmp_ge_u32 s[sgprWorkGroup1], s33                // wg1 >= nwg1-1
s_cselect_b32 s32, s32, 0                          // set rMT1
s_cmpk_gt_u32 s32, 0x0                             // rMT1 > 0
s_cbranch_scc1 GW_B0_E1_36                         // jump if edges required
GW_B0_E0_33:

/* edge=0, allocate 2 sgpr. perBatchTmpS=2 perBatchMaskS=0 perElementMaskS=0 elementsPerBatch=240 */
/* optSingleColVgpr=1 optSharedColVgpr=0 optSGPRUsage=BufferLoad_Mask optSrdIncForRow=1 */
s_sleep 5 // optimization: sync and wait
s_barrier

/******************************************/
/* Global Write Alpha Batch #0 (d1,d0,vc1,vc0) = */
/*    (0,0,0,0:vw1); (0,1,0,0:vw1); (0,2,0,0:vw1); (0,3,0,0:vw1); (0,4,0,0:vw1); (0,5,0,0:vw1); (0,0,1,0:vw1); (0,1,1,0:vw1); (0,2,1,0:vw1); (0,3,1,0:vw1); (0,4,1,0:vw1); (0,5,1,0:vw1); (0,0,2,0:vw1); (0,1,2,0:vw1); (0,2,2,0:vw1); (0,3,2,0:vw1); (0,4,2,0:vw1); (0,5,2,0:vw1); (0,0,3,0:vw1); (0,1,3,0:vw1); (0,2,3,0:vw1); (0,3,3,0:vw1); (0,4,3,0:vw1); (0,5,3,0:vw1); (1,0,0,0:vw1); (1,1,0,0:vw1); (1,2,0,0:vw1); (1,3,0,0:vw1); (1,4,0,0:vw1); (1,5,0,0:vw1); (1,0,1,0:vw1); (1,1,1,0:vw1); (1,2,1,0:vw1); (1,3,1,0:vw1); (1,4,1,0:vw1); (1,5,1,0:vw1); (1,0,2,0:vw1); (1,1,2,0:vw1); (1,2,2,0:vw1); (1,3,2,0:vw1); (1,4,2,0:vw1); (1,5,2,0:vw1); (1,0,3,0:vw1); (1,1,3,0:vw1); (1,2,3,0:vw1); (1,3,3,0:vw1); (1,4,3,0:vw1); (1,5,3,0:vw1); (2,0,0,0:vw1); (2,1,0,0:vw1); (2,2,0,0:vw1); (2,3,0,0:vw1); (2,4,0,0:vw1); (2,5,0,0:vw1); (2,0,1,0:vw1); (2,1,1,0:vw1); (2,2,1,0:vw1); (2,3,1,0:vw1); (2,4,1,0:vw1); (2,5,1,0:vw1); (2,0,2,0:vw1); (2,1,2,0:vw1); (2,2,2,0:vw1); (2,3,2,0:vw1); (2,4,2,0:vw1); (2,5,2,0:vw1); (2,0,3,0:vw1); (2,1,3,0:vw1); (2,2,3,0:vw1); (2,3,3,0:vw1); (2,4,3,0:vw1); (2,5,3,0:vw1); (3,0,0,0:vw1); (3,1,0,0:vw1); (3,2,0,0:vw1); (3,3,0,0:vw1); (3,4,0,0:vw1); (3,5,0,0:vw1); (3,0,1,0:vw1); (3,1,1,0:vw1); (3,2,1,0:vw1); (3,3,1,0:vw1); (3,4,1,0:vw1); (3,5,1,0:vw1); (3,0,2,0:vw1); (3,1,2,0:vw1); (3,2,2,0:vw1); (3,3,2,0:vw1); (3,4,2,0:vw1); (3,5,2,0:vw1); (3,0,3,0:vw1); (3,1,3,0:vw1); (3,2,3,0:vw1); (3,3,3,0:vw1); (3,4,3,0:vw1); (3,5,3,0:vw1); (4,0,0,0:vw1); (4,1,0,0:vw1); (4,2,0,0:vw1); (4,3,0,0:vw1); (4,4,0,0:vw1); (4,5,0,0:vw1); (4,0,1,0:vw1); (4,1,1,0:vw1); (4,2,1,0:vw1); (4,3,1,0:vw1); (4,4,1,0:vw1); (4,5,1,0:vw1); (4,0,2,0:vw1); (4,1,2,0:vw1); (4,2,2,0:vw1); (4,3,2,0:vw1); (4,4,2,0:vw1); (4,5,2,0:vw1); (4,0,3,0:vw1); (4,1,3,0:vw1); (4,2,3,0:vw1); (4,3,3,0:vw1); (4,4,3,0:vw1); (4,5,3,0:vw1); (5,0,0,0:vw1); (5,1,0,0:vw1); (5,2,0,0:vw1); (5,3,0,0:vw1); (5,4,0,0:vw1); (5,5,0,0:vw1); (5,0,1,0:vw1); (5,1,1,0:vw1); (5,2,1,0:vw1); (5,3,1,0:vw1); (5,4,1,0:vw1); (5,5,1,0:vw1); (5,0,2,0:vw1); (5,1,2,0:vw1); (5,2,2,0:vw1); (5,3,2,0:vw1); (5,4,2,0:vw1); (5,5,2,0:vw1); (5,0,3,0:vw1); (5,1,3,0:vw1); (5,2,3,0:vw1); (5,3,3,0:vw1); (5,4,3,0:vw1); (5,5,3,0:vw1); (6,0,0,0:vw1); (6,1,0,0:vw1); (6,2,0,0:vw1); (6,3,0,0:vw1); (6,4,0,0:vw1); (6,5,0,0:vw1); (6,0,1,0:vw1); (6,1,1,0:vw1); (6,2,1,0:vw1); (6,3,1,0:vw1); (6,4,1,0:vw1); (6,5,1,0:vw1); (6,0,2,0:vw1); (6,1,2,0:vw1); (6,2,2,0:vw1); (6,3,2,0:vw1); (6,4,2,0:vw1); (6,5,2,0:vw1); (6,0,3,0:vw1); (6,1,3,0:vw1); (6,2,3,0:vw1); (6,3,3,0:vw1); (6,4,3,0:vw1); (6,5,3,0:vw1); (7,0,0,0:vw1); (7,1,0,0:vw1); (7,2,0,0:vw1); (7,3,0,0:vw1); (7,4,0,0:vw1); (7,5,0,0:vw1); (7,0,1,0:vw1); (7,1,1,0:vw1); (7,2,1,0:vw1); (7,3,1,0:vw1); (7,4,1,0:vw1); (7,5,1,0:vw1); (7,0,2,0:vw1); (7,1,2,0:vw1); (7,2,2,0:vw1); (7,3,2,0:vw1); (7,4,2,0:vw1); (7,5,2,0:vw1); (7,0,3,0:vw1); (7,1,3,0:vw1); (7,2,3,0:vw1); (7,3,3,0:vw1); (7,4,3,0:vw1); (7,5,3,0:vw1) */
/******************************************/

/* calc coords, apply mask, and issue loads (if necessary) */
/* (d1,vc1,d0,vc0)=(0,0,0,0) */
/* (d1,vc1,d0,vc0)=(0,0,1,0) */
	;; [unrolled: 1-line block ×192, first 2 shown]
_v_add_lshl_u32 v10, v3, v0, 0x1                   // optSingleColVgpr scaleToBpe: sharedAddrVgpr <- cinRowPtr + coord0, scaled by BPE. BSHERE:coord0=0, coord0Vgpr=0
v_accvgpr_read_b32 v[vgprValuC+12], acc0 // copy acc to vreg[0]
v_accvgpr_read_b32 v[vgprValuC+13], acc4 // copy acc to vreg[1]
v_accvgpr_read_b32 v[vgprValuC+14], acc8 // copy acc to vreg[2]
v_accvgpr_read_b32 v[vgprValuC+15], acc12 // copy acc to vreg[3]
v_accvgpr_read_b32 v[vgprValuC+16], acc16 // copy acc to vreg[4]
v_accvgpr_read_b32 v[vgprValuC+17], acc20 // copy acc to vreg[5]
v_accvgpr_read_b32 v[vgprValuC+18], acc1 // copy acc to vreg[6]
v_accvgpr_read_b32 v[vgprValuC+19], acc5 // copy acc to vreg[7]
v_accvgpr_read_b32 v[vgprValuC+20], acc9 // copy acc to vreg[8]
v_accvgpr_read_b32 v[vgprValuC+21], acc13 // copy acc to vreg[9]
v_accvgpr_read_b32 v[vgprValuC+22], acc17 // copy acc to vreg[10]
v_accvgpr_read_b32 v[vgprValuC+23], acc21 // copy acc to vreg[11]
v_accvgpr_read_b32 v[vgprValuC+24], acc2 // copy acc to vreg[12]
v_accvgpr_read_b32 v[vgprValuC+25], acc6 // copy acc to vreg[13]
v_accvgpr_read_b32 v[vgprValuC+26], acc10 // copy acc to vreg[14]
v_accvgpr_read_b32 v[vgprValuC+27], acc14 // copy acc to vreg[15]
v_accvgpr_read_b32 v[vgprValuC+28], acc18 // copy acc to vreg[16]
v_accvgpr_read_b32 v[vgprValuC+29], acc22 // copy acc to vreg[17]
v_accvgpr_read_b32 v[vgprValuC+30], acc3 // copy acc to vreg[18]
v_accvgpr_read_b32 v[vgprValuC+31], acc7 // copy acc to vreg[19]
v_accvgpr_read_b32 v[vgprValuC+32], acc11 // copy acc to vreg[20]
v_accvgpr_read_b32 v[vgprValuC+33], acc15 // copy acc to vreg[21]
v_accvgpr_read_b32 v[vgprValuC+34], acc19 // copy acc to vreg[22]
v_accvgpr_read_b32 v[vgprValuC+35], acc23 // copy acc to vreg[23]
v_accvgpr_read_b32 v[vgprValuC+36], acc24 // copy acc to vreg[24]
v_accvgpr_read_b32 v[vgprValuC+37], acc28 // copy acc to vreg[25]
v_accvgpr_read_b32 v[vgprValuC+38], acc32 // copy acc to vreg[26]
v_accvgpr_read_b32 v[vgprValuC+39], acc36 // copy acc to vreg[27]
v_accvgpr_read_b32 v[vgprValuC+40], acc40 // copy acc to vreg[28]
v_accvgpr_read_b32 v[vgprValuC+41], acc44 // copy acc to vreg[29]
v_accvgpr_read_b32 v[vgprValuC+42], acc25 // copy acc to vreg[30]
v_accvgpr_read_b32 v[vgprValuC+43], acc29 // copy acc to vreg[31]
v_accvgpr_read_b32 v[vgprValuC+44], acc33 // copy acc to vreg[32]
v_accvgpr_read_b32 v[vgprValuC+45], acc37 // copy acc to vreg[33]
v_accvgpr_read_b32 v[vgprValuC+46], acc41 // copy acc to vreg[34]
v_accvgpr_read_b32 v[vgprValuC+47], acc45 // copy acc to vreg[35]
v_accvgpr_read_b32 v[vgprValuC+48], acc26 // copy acc to vreg[36]
v_accvgpr_read_b32 v[vgprValuC+49], acc30 // copy acc to vreg[37]
v_accvgpr_read_b32 v[vgprValuC+50], acc34 // copy acc to vreg[38]
v_accvgpr_read_b32 v[vgprValuC+51], acc38 // copy acc to vreg[39]
v_accvgpr_read_b32 v[vgprValuC+52], acc42 // copy acc to vreg[40]
v_accvgpr_read_b32 v[vgprValuC+53], acc46 // copy acc to vreg[41]
v_accvgpr_read_b32 v[vgprValuC+54], acc27 // copy acc to vreg[42]
v_accvgpr_read_b32 v[vgprValuC+55], acc31 // copy acc to vreg[43]
v_accvgpr_read_b32 v[vgprValuC+56], acc35 // copy acc to vreg[44]
v_accvgpr_read_b32 v[vgprValuC+57], acc39 // copy acc to vreg[45]
v_accvgpr_read_b32 v[vgprValuC+58], acc43 // copy acc to vreg[46]
v_accvgpr_read_b32 v[vgprValuC+59], acc47 // copy acc to vreg[47]
v_accvgpr_read_b32 v[vgprValuC+60], acc48 // copy acc to vreg[48]
v_accvgpr_read_b32 v[vgprValuC+61], acc52 // copy acc to vreg[49]
v_accvgpr_read_b32 v[vgprValuC+62], acc56 // copy acc to vreg[50]
v_accvgpr_read_b32 v[vgprValuC+63], acc60 // copy acc to vreg[51]
v_accvgpr_read_b32 v[vgprValuC+64], acc64 // copy acc to vreg[52]
v_accvgpr_read_b32 v[vgprValuC+65], acc68 // copy acc to vreg[53]
v_accvgpr_read_b32 v[vgprValuC+66], acc49 // copy acc to vreg[54]
v_accvgpr_read_b32 v[vgprValuC+67], acc53 // copy acc to vreg[55]
v_accvgpr_read_b32 v[vgprValuC+68], acc57 // copy acc to vreg[56]
v_accvgpr_read_b32 v[vgprValuC+69], acc61 // copy acc to vreg[57]
v_accvgpr_read_b32 v[vgprValuC+70], acc65 // copy acc to vreg[58]
v_accvgpr_read_b32 v[vgprValuC+71], acc69 // copy acc to vreg[59]
v_accvgpr_read_b32 v[vgprValuC+72], acc50 // copy acc to vreg[60]
v_accvgpr_read_b32 v[vgprValuC+73], acc54 // copy acc to vreg[61]
v_accvgpr_read_b32 v[vgprValuC+74], acc58 // copy acc to vreg[62]
v_accvgpr_read_b32 v[vgprValuC+75], acc62 // copy acc to vreg[63]
v_accvgpr_read_b32 v[vgprValuC+76], acc66 // copy acc to vreg[64]
v_accvgpr_read_b32 v[vgprValuC+77], acc70 // copy acc to vreg[65]
v_accvgpr_read_b32 v[vgprValuC+78], acc51 // copy acc to vreg[66]
v_accvgpr_read_b32 v[vgprValuC+79], acc55 // copy acc to vreg[67]
v_accvgpr_read_b32 v[vgprValuC+80], acc59 // copy acc to vreg[68]
v_accvgpr_read_b32 v[vgprValuC+81], acc63 // copy acc to vreg[69]
v_accvgpr_read_b32 v[vgprValuC+82], acc67 // copy acc to vreg[70]
v_accvgpr_read_b32 v[vgprValuC+83], acc71 // copy acc to vreg[71]
v_accvgpr_read_b32 v[vgprValuC+84], acc72 // copy acc to vreg[72]
v_accvgpr_read_b32 v[vgprValuC+85], acc76 // copy acc to vreg[73]
v_accvgpr_read_b32 v[vgprValuC+86], acc80 // copy acc to vreg[74]
v_accvgpr_read_b32 v[vgprValuC+87], acc84 // copy acc to vreg[75]
v_accvgpr_read_b32 v[vgprValuC+88], acc88 // copy acc to vreg[76]
v_accvgpr_read_b32 v[vgprValuC+89], acc92 // copy acc to vreg[77]
v_accvgpr_read_b32 v[vgprValuC+90], acc73 // copy acc to vreg[78]
v_accvgpr_read_b32 v[vgprValuC+91], acc77 // copy acc to vreg[79]
v_accvgpr_read_b32 v[vgprValuC+92], acc81 // copy acc to vreg[80]
v_accvgpr_read_b32 v[vgprValuC+93], acc85 // copy acc to vreg[81]
v_accvgpr_read_b32 v[vgprValuC+94], acc89 // copy acc to vreg[82]
v_accvgpr_read_b32 v[vgprValuC+95], acc93 // copy acc to vreg[83]
v_accvgpr_read_b32 v[vgprValuC+96], acc74 // copy acc to vreg[84]
v_accvgpr_read_b32 v[vgprValuC+97], acc78 // copy acc to vreg[85]
v_accvgpr_read_b32 v[vgprValuC+98], acc82 // copy acc to vreg[86]
v_accvgpr_read_b32 v[vgprValuC+99], acc86 // copy acc to vreg[87]
v_accvgpr_read_b32 v[vgprValuC+100], acc90 // copy acc to vreg[88]
v_accvgpr_read_b32 v[vgprValuC+101], acc94 // copy acc to vreg[89]
v_accvgpr_read_b32 v[vgprValuC+102], acc75 // copy acc to vreg[90]
v_accvgpr_read_b32 v[vgprValuC+103], acc79 // copy acc to vreg[91]
v_accvgpr_read_b32 v[vgprValuC+104], acc83 // copy acc to vreg[92]
v_accvgpr_read_b32 v[vgprValuC+105], acc87 // copy acc to vreg[93]
v_accvgpr_read_b32 v[vgprValuC+106], acc91 // copy acc to vreg[94]
v_accvgpr_read_b32 v[vgprValuC+107], acc95 // copy acc to vreg[95]
v_accvgpr_read_b32 v[vgprValuC+108], acc96 // copy acc to vreg[96]
v_accvgpr_read_b32 v[vgprValuC+109], acc100 // copy acc to vreg[97]
v_accvgpr_read_b32 v[vgprValuC+110], acc104 // copy acc to vreg[98]
v_accvgpr_read_b32 v[vgprValuC+111], acc108 // copy acc to vreg[99]
v_accvgpr_read_b32 v[vgprValuC+112], acc112 // copy acc to vreg[100]
v_accvgpr_read_b32 v[vgprValuC+113], acc116 // copy acc to vreg[101]
v_accvgpr_read_b32 v[vgprValuC+114], acc97 // copy acc to vreg[102]
v_accvgpr_read_b32 v[vgprValuC+115], acc101 // copy acc to vreg[103]
v_accvgpr_read_b32 v[vgprValuC+116], acc105 // copy acc to vreg[104]
v_accvgpr_read_b32 v[vgprValuC+117], acc109 // copy acc to vreg[105]
v_accvgpr_read_b32 v[vgprValuC+118], acc113 // copy acc to vreg[106]
v_accvgpr_read_b32 v[vgprValuC+119], acc117 // copy acc to vreg[107]
v_accvgpr_read_b32 v[vgprValuC+120], acc98 // copy acc to vreg[108]
v_accvgpr_read_b32 v[vgprValuC+121], acc102 // copy acc to vreg[109]
v_accvgpr_read_b32 v[vgprValuC+122], acc106 // copy acc to vreg[110]
v_accvgpr_read_b32 v[vgprValuC+123], acc110 // copy acc to vreg[111]
v_accvgpr_read_b32 v[vgprValuC+124], acc114 // copy acc to vreg[112]
v_accvgpr_read_b32 v[vgprValuC+125], acc118 // copy acc to vreg[113]
v_accvgpr_read_b32 v[vgprValuC+126], acc99 // copy acc to vreg[114]
v_accvgpr_read_b32 v[vgprValuC+127], acc103 // copy acc to vreg[115]
v_accvgpr_read_b32 v[vgprValuC+128], acc107 // copy acc to vreg[116]
v_accvgpr_read_b32 v[vgprValuC+129], acc111 // copy acc to vreg[117]
v_accvgpr_read_b32 v[vgprValuC+130], acc115 // copy acc to vreg[118]
v_accvgpr_read_b32 v[vgprValuC+131], acc119 // copy acc to vreg[119]
v_accvgpr_read_b32 v[vgprValuC+132], acc120 // copy acc to vreg[120]
v_accvgpr_read_b32 v[vgprValuC+133], acc124 // copy acc to vreg[121]
v_accvgpr_read_b32 v[vgprValuC+134], acc128 // copy acc to vreg[122]
v_accvgpr_read_b32 v[vgprValuC+135], acc132 // copy acc to vreg[123]
v_accvgpr_read_b32 v[vgprValuC+136], acc136 // copy acc to vreg[124]
v_accvgpr_read_b32 v[vgprValuC+137], acc140 // copy acc to vreg[125]
v_accvgpr_read_b32 v[vgprValuC+138], acc121 // copy acc to vreg[126]
v_accvgpr_read_b32 v[vgprValuC+139], acc125 // copy acc to vreg[127]
v_accvgpr_read_b32 v[vgprValuC+140], acc129 // copy acc to vreg[128]
v_accvgpr_read_b32 v[vgprValuC+141], acc133 // copy acc to vreg[129]
v_accvgpr_read_b32 v[vgprValuC+142], acc137 // copy acc to vreg[130]
v_accvgpr_read_b32 v[vgprValuC+143], acc141 // copy acc to vreg[131]
v_accvgpr_read_b32 v[vgprValuC+144], acc122 // copy acc to vreg[132]
v_accvgpr_read_b32 v[vgprValuC+145], acc126 // copy acc to vreg[133]
v_accvgpr_read_b32 v[vgprValuC+146], acc130 // copy acc to vreg[134]
v_accvgpr_read_b32 v[vgprValuC+147], acc134 // copy acc to vreg[135]
v_accvgpr_read_b32 v[vgprValuC+148], acc138 // copy acc to vreg[136]
v_accvgpr_read_b32 v[vgprValuC+149], acc142 // copy acc to vreg[137]
v_accvgpr_read_b32 v[vgprValuC+150], acc123 // copy acc to vreg[138]
v_accvgpr_read_b32 v[vgprValuC+151], acc127 // copy acc to vreg[139]
v_accvgpr_read_b32 v[vgprValuC+152], acc131 // copy acc to vreg[140]
v_accvgpr_read_b32 v[vgprValuC+153], acc135 // copy acc to vreg[141]
v_accvgpr_read_b32 v[vgprValuC+154], acc139 // copy acc to vreg[142]
v_accvgpr_read_b32 v[vgprValuC+155], acc143 // copy acc to vreg[143]
v_accvgpr_read_b32 v[vgprValuC+156], acc144 // copy acc to vreg[144]
v_accvgpr_read_b32 v[vgprValuC+157], acc148 // copy acc to vreg[145]
v_accvgpr_read_b32 v[vgprValuC+158], acc152 // copy acc to vreg[146]
v_accvgpr_read_b32 v[vgprValuC+159], acc156 // copy acc to vreg[147]
v_accvgpr_read_b32 v[vgprValuC+160], acc160 // copy acc to vreg[148]
v_accvgpr_read_b32 v[vgprValuC+161], acc164 // copy acc to vreg[149]
v_accvgpr_read_b32 v[vgprValuC+162], acc145 // copy acc to vreg[150]
v_accvgpr_read_b32 v[vgprValuC+163], acc149 // copy acc to vreg[151]
v_accvgpr_read_b32 v[vgprValuC+164], acc153 // copy acc to vreg[152]
v_accvgpr_read_b32 v[vgprValuC+165], acc157 // copy acc to vreg[153]
v_accvgpr_read_b32 v[vgprValuC+166], acc161 // copy acc to vreg[154]
v_accvgpr_read_b32 v[vgprValuC+167], acc165 // copy acc to vreg[155]
v_accvgpr_read_b32 v[vgprValuC+168], acc146 // copy acc to vreg[156]
v_accvgpr_read_b32 v[vgprValuC+169], acc150 // copy acc to vreg[157]
v_accvgpr_read_b32 v[vgprValuC+170], acc154 // copy acc to vreg[158]
v_accvgpr_read_b32 v[vgprValuC+171], acc158 // copy acc to vreg[159]
v_accvgpr_read_b32 v[vgprValuC+175], acc162 // copy acc to vreg[160]
v_accvgpr_read_b32 v[vgprValuC+176], acc166 // copy acc to vreg[161]
v_accvgpr_read_b32 v[vgprValuC+177], acc147 // copy acc to vreg[162]
v_accvgpr_read_b32 v[vgprValuC+178], acc151 // copy acc to vreg[163]
v_accvgpr_read_b32 v[vgprValuC+179], acc155 // copy acc to vreg[164]
v_accvgpr_read_b32 v[vgprValuC+180], acc159 // copy acc to vreg[165]
v_accvgpr_read_b32 v[vgprValuC+181], acc163 // copy acc to vreg[166]
v_accvgpr_read_b32 v[vgprValuC+182], acc167 // copy acc to vreg[167]
v_accvgpr_read_b32 v[vgprValuC+183], acc168 // copy acc to vreg[168]
v_accvgpr_read_b32 v[vgprValuC+184], acc172 // copy acc to vreg[169]
v_accvgpr_read_b32 v[vgprValuC+185], acc176 // copy acc to vreg[170]
v_accvgpr_read_b32 v[vgprValuC+186], acc180 // copy acc to vreg[171]
v_accvgpr_read_b32 v[vgprValuC+187], acc184 // copy acc to vreg[172]
v_accvgpr_read_b32 v[vgprValuC+188], acc188 // copy acc to vreg[173]
v_accvgpr_read_b32 v[vgprValuC+189], acc169 // copy acc to vreg[174]
v_accvgpr_read_b32 v[vgprValuC+190], acc173 // copy acc to vreg[175]
v_accvgpr_read_b32 v[vgprValuC+191], acc177 // copy acc to vreg[176]
v_accvgpr_read_b32 v[vgprValuC+192], acc181 // copy acc to vreg[177]
v_accvgpr_read_b32 v[vgprValuC+193], acc185 // copy acc to vreg[178]
v_accvgpr_read_b32 v[vgprValuC+194], acc189 // copy acc to vreg[179]
v_accvgpr_read_b32 v[vgprValuC+195], acc170 // copy acc to vreg[180]
v_accvgpr_read_b32 v[vgprValuC+196], acc174 // copy acc to vreg[181]
v_accvgpr_read_b32 v[vgprValuC+197], acc178 // copy acc to vreg[182]
v_accvgpr_read_b32 v[vgprValuC+198], acc182 // copy acc to vreg[183]
v_accvgpr_read_b32 v[vgprValuC+199], acc186 // copy acc to vreg[184]
v_accvgpr_read_b32 v[vgprValuC+200], acc190 // copy acc to vreg[185]
v_accvgpr_read_b32 v[vgprValuC+201], acc171 // copy acc to vreg[186]
v_accvgpr_read_b32 v[vgprValuC+202], acc175 // copy acc to vreg[187]
v_accvgpr_read_b32 v[vgprValuC+203], acc179 // copy acc to vreg[188]
v_accvgpr_read_b32 v[vgprValuC+204], acc183 // copy acc to vreg[189]
v_accvgpr_read_b32 v[vgprValuC+205], acc187 // copy acc to vreg[190]
v_accvgpr_read_b32 v[vgprValuC+206], acc191 // copy acc to vreg[191]
s_nop 1                                            // 2 wait states required before reading vgpr

/* rC *= alpha batchElements=[(0, 0, 0, 0), (0, 1, 0, 0), (0, 2, 0, 0), (0, 3, 0, 0), (0, 4, 0, 0), (0, 5, 0, 0), (0, 0, 1, 0), (0, 1, 1, 0), (0, 2, 1, 0), (0, 3, 1, 0), (0, 4, 1, 0), (0, 5, 1, 0), (0, 0, 2, 0), (0, 1, 2, 0), (0, 2, 2, 0), (0, 3, 2, 0), (0, 4, 2, 0), (0, 5, 2, 0), (0, 0, 3, 0), (0, 1, 3, 0), (0, 2, 3, 0), (0, 3, 3, 0), (0, 4, 3, 0), (0, 5, 3, 0), (1, 0, 0, 0), (1, 1, 0, 0), (1, 2, 0, 0), (1, 3, 0, 0), (1, 4, 0, 0), (1, 5, 0, 0), (1, 0, 1, 0), (1, 1, 1, 0), (1, 2, 1, 0), (1, 3, 1, 0), (1, 4, 1, 0), (1, 5, 1, 0), (1, 0, 2, 0), (1, 1, 2, 0), (1, 2, 2, 0), (1, 3, 2, 0), (1, 4, 2, 0), (1, 5, 2, 0), (1, 0, 3, 0), (1, 1, 3, 0), (1, 2, 3, 0), (1, 3, 3, 0), (1, 4, 3, 0), (1, 5, 3, 0), (2, 0, 0, 0), (2, 1, 0, 0), (2, 2, 0, 0), (2, 3, 0, 0), (2, 4, 0, 0), (2, 5, 0, 0), (2, 0, 1, 0), (2, 1, 1, 0), (2, 2, 1, 0), (2, 3, 1, 0), (2, 4, 1, 0), (2, 5, 1, 0), (2, 0, 2, 0), (2, 1, 2, 0), (2, 2, 2, 0), (2, 3, 2, 0), (2, 4, 2, 0), (2, 5, 2, 0), (2, 0, 3, 0), (2, 1, 3, 0), (2, 2, 3, 0), (2, 3, 3, 0), (2, 4, 3, 0), (2, 5, 3, 0), (3, 0, 0, 0), (3, 1, 0, 0), (3, 2, 0, 0), (3, 3, 0, 0), (3, 4, 0, 0), (3, 5, 0, 0), (3, 0, 1, 0), (3, 1, 1, 0), (3, 2, 1, 0), (3, 3, 1, 0), (3, 4, 1, 0), (3, 5, 1, 0), (3, 0, 2, 0), (3, 1, 2, 0), (3, 2, 2, 0), (3, 3, 2, 0), (3, 4, 2, 0), (3, 5, 2, 0), (3, 0, 3, 0), (3, 1, 3, 0), (3, 2, 3, 0), (3, 3, 3, 0), (3, 4, 3, 0), (3, 5, 3, 0), (4, 0, 0, 0), (4, 1, 0, 0), (4, 2, 0, 0), (4, 3, 0, 0), (4, 4, 0, 0), (4, 5, 0, 0), (4, 0, 1, 0), (4, 1, 1, 0), (4, 2, 1, 0), (4, 3, 1, 0), (4, 4, 1, 0), (4, 5, 1, 0), (4, 0, 2, 0), (4, 1, 2, 0), (4, 2, 2, 0), (4, 3, 2, 0), (4, 4, 2, 0), (4, 5, 2, 0), (4, 0, 3, 0), (4, 1, 3, 0), (4, 2, 3, 0), (4, 3, 3, 0), (4, 4, 3, 0), (4, 5, 3, 0), (5, 0, 0, 0), (5, 1, 0, 0), (5, 2, 0, 0), (5, 3, 0, 0), (5, 4, 0, 0), (5, 5, 0, 0), (5, 0, 1, 0), (5, 1, 1, 0), (5, 2, 1, 0), (5, 3, 1, 0), (5, 4, 1, 0), (5, 5, 1, 0), (5, 0, 2, 0), (5, 1, 2, 0), (5, 2, 2, 0), (5, 3, 2, 0), (5, 4, 2, 0), (5, 5, 2, 0), (5, 0, 3, 0), (5, 1, 3, 0), (5, 2, 3, 0), (5, 3, 3, 0), (5, 4, 3, 0), (5, 5, 3, 0), (6, 0, 0, 0), (6, 1, 0, 0), (6, 2, 0, 0), (6, 3, 0, 0), (6, 4, 0, 0), (6, 5, 0, 0), (6, 0, 1, 0), (6, 1, 1, 0), (6, 2, 1, 0), (6, 3, 1, 0), (6, 4, 1, 0), (6, 5, 1, 0), (6, 0, 2, 0), (6, 1, 2, 0), (6, 2, 2, 0), (6, 3, 2, 0), (6, 4, 2, 0), (6, 5, 2, 0), (6, 0, 3, 0), (6, 1, 3, 0), (6, 2, 3, 0), (6, 3, 3, 0), (6, 4, 3, 0), (6, 5, 3, 0), (7, 0, 0, 0), (7, 1, 0, 0), (7, 2, 0, 0), (7, 3, 0, 0), (7, 4, 0, 0), (7, 5, 0, 0), (7, 0, 1, 0), (7, 1, 1, 0), (7, 2, 1, 0), (7, 3, 1, 0), (7, 4, 1, 0), (7, 5, 1, 0), (7, 0, 2, 0), (7, 1, 2, 0), (7, 2, 2, 0), (7, 3, 2, 0), (7, 4, 2, 0), (7, 5, 2, 0), (7, 0, 3, 0), (7, 1, 3, 0), (7, 2, 3, 0), (7, 3, 3, 0), (7, 4, 3, 0), (7, 5, 3, 0)] */
v_mul_f32 v[vgprValuC+12], s[sgprAlpha], v[vgprValuC+12] // *= alpha
v_mul_f32 v[vgprValuC+13], s[sgprAlpha], v[vgprValuC+13] // *= alpha
	;; [unrolled: 1-line block ×192, first 2 shown]

/* apply mask, calc new C and issue writes */
v_mov_b32 v7, 0xffff0000                           // mask for pack two bfloat16 element to 32bit
v_mov_b32 v8, 0x7fff0000                           // fp32 Nan
v_mov_b32 v9, 0x7fff                               // rounding bias for bfloat16
v_cmp_u_f32 s[32:33], v[vgprValuC+12], v[vgprValuC+12] // check Nan
v_bfe_u32 v6, v[vgprValuC+12], 16, 1               // Non-Nan case: store lsb of bf16
v_add3_u32 v6, v[vgprValuC+12], v6, v9             // Non-Nan case: add lsb and the increment for rounding
v_cndmask_b32 v[vgprValuC+12], v6, v8, s[32:33]    // 
v_lshrrev_b32 v[vgprValuC+12], 16, v[vgprValuC+12] // convert C to bf16
_buffer_store_b16 v12, v10, s[sgprSrdD:sgprSrdD+3], 0, offen, offset:0,  sc0 sc1 // store D
v_cmp_u_f32 s[32:33], v[vgprValuC+13], v[vgprValuC+13] // check Nan
v_bfe_u32 v6, v[vgprValuC+13], 16, 1               // Non-Nan case: store lsb of bf16
v_add3_u32 v6, v[vgprValuC+13], v6, v9             // Non-Nan case: add lsb and the increment for rounding
v_cndmask_b32 v[vgprValuC+13], v6, v8, s[32:33]    // 
v_lshrrev_b32 v[vgprValuC+13], 16, v[vgprValuC+13] // convert C to bf16
_buffer_store_b16 v13, v10, s[sgprSrdD:sgprSrdD+3], 0, offen, offset:64,  sc0 sc1 // store D
	;; [unrolled: 6-line block ×6, first 2 shown]
v_cmp_u_f32 s[32:33], v[vgprValuC+18], v[vgprValuC+18] // check Nan
v_bfe_u32 v6, v[vgprValuC+18], 16, 1               // Non-Nan case: store lsb of bf16
v_add3_u32 v6, v[vgprValuC+18], v6, v9             // Non-Nan case: add lsb and the increment for rounding
v_cndmask_b32 v[vgprValuC+18], v6, v8, s[32:33]    // 
v_lshrrev_b32 v[vgprValuC+18], 16, v[vgprValuC+18] // convert C to bf16
s_lshl_b32  s32, s[sgprStrideD1J], 1               // incToNextRow: Scale by BPE
s_add_u32  s[sgprSrdD+0], s[sgprSrdD+0], s32       // incToNextRow: gra SRD += inc(lower)
s_addc_u32  s[sgprSrdD+1], s[sgprSrdD+1], 0        // incToNextRow: gra SRD += inc(upper)
_buffer_store_b16 v18, v10, s[sgprSrdD:sgprSrdD+3], 0, offen, offset:0,  sc0 sc1 // store D
v_cmp_u_f32 s[32:33], v[vgprValuC+19], v[vgprValuC+19] // check Nan
v_bfe_u32 v6, v[vgprValuC+19], 16, 1               // Non-Nan case: store lsb of bf16
v_add3_u32 v6, v[vgprValuC+19], v6, v9             // Non-Nan case: add lsb and the increment for rounding
v_cndmask_b32 v[vgprValuC+19], v6, v8, s[32:33]    // 
v_lshrrev_b32 v[vgprValuC+19], 16, v[vgprValuC+19] // convert C to bf16
_buffer_store_b16 v19, v10, s[sgprSrdD:sgprSrdD+3], 0, offen, offset:64,  sc0 sc1 // store D
v_cmp_u_f32 s[32:33], v[vgprValuC+20], v[vgprValuC+20] // check Nan
v_bfe_u32 v6, v[vgprValuC+20], 16, 1               // Non-Nan case: store lsb of bf16
v_add3_u32 v6, v[vgprValuC+20], v6, v9             // Non-Nan case: add lsb and the increment for rounding
v_cndmask_b32 v[vgprValuC+20], v6, v8, s[32:33]    // 
v_lshrrev_b32 v[vgprValuC+20], 16, v[vgprValuC+20] // convert C to bf16
_buffer_store_b16 v20, v10, s[sgprSrdD:sgprSrdD+3], 0, offen, offset:128,  sc0 sc1 // store D
v_cmp_u_f32 s[32:33], v[vgprValuC+21], v[vgprValuC+21] // check Nan
v_bfe_u32 v6, v[vgprValuC+21], 16, 1               // Non-Nan case: store lsb of bf16
v_add3_u32 v6, v[vgprValuC+21], v6, v9             // Non-Nan case: add lsb and the increment for rounding
v_cndmask_b32 v[vgprValuC+21], v6, v8, s[32:33]    // 
v_lshrrev_b32 v[vgprValuC+21], 16, v[vgprValuC+21] // convert C to bf16
_buffer_store_b16 v21, v10, s[sgprSrdD:sgprSrdD+3], 0, offen, offset:192,  sc0 sc1 // store D
v_cmp_u_f32 s[32:33], v[vgprValuC+22], v[vgprValuC+22] // check Nan
v_bfe_u32 v6, v[vgprValuC+22], 16, 1               // Non-Nan case: store lsb of bf16
v_add3_u32 v6, v[vgprValuC+22], v6, v9             // Non-Nan case: add lsb and the increment for rounding
v_cndmask_b32 v[vgprValuC+22], v6, v8, s[32:33]    // 
v_lshrrev_b32 v[vgprValuC+22], 16, v[vgprValuC+22] // convert C to bf16
_buffer_store_b16 v22, v10, s[sgprSrdD:sgprSrdD+3], 0, offen, offset:256,  sc0 sc1 // store D
v_cmp_u_f32 s[32:33], v[vgprValuC+23], v[vgprValuC+23] // check Nan
v_bfe_u32 v6, v[vgprValuC+23], 16, 1               // Non-Nan case: store lsb of bf16
v_add3_u32 v6, v[vgprValuC+23], v6, v9             // Non-Nan case: add lsb and the increment for rounding
v_cndmask_b32 v[vgprValuC+23], v6, v8, s[32:33]    // 
v_lshrrev_b32 v[vgprValuC+23], 16, v[vgprValuC+23] // convert C to bf16
_buffer_store_b16 v23, v10, s[sgprSrdD:sgprSrdD+3], 0, offen, offset:320,  sc0 sc1 // store D
v_cmp_u_f32 s[32:33], v[vgprValuC+24], v[vgprValuC+24] // check Nan
v_bfe_u32 v6, v[vgprValuC+24], 16, 1               // Non-Nan case: store lsb of bf16
v_add3_u32 v6, v[vgprValuC+24], v6, v9             // Non-Nan case: add lsb and the increment for rounding
v_cndmask_b32 v[vgprValuC+24], v6, v8, s[32:33]    // 
v_lshrrev_b32 v[vgprValuC+24], 16, v[vgprValuC+24] // convert C to bf16
s_lshl_b32  s32, s[sgprStrideD1J], 1               // incToNextRow: Scale by BPE
s_add_u32  s[sgprSrdD+0], s[sgprSrdD+0], s32       // incToNextRow: gra SRD += inc(lower)
s_addc_u32  s[sgprSrdD+1], s[sgprSrdD+1], 0        // incToNextRow: gra SRD += inc(upper)
_buffer_store_b16 v24, v10, s[sgprSrdD:sgprSrdD+3], 0, offen, offset:0,  sc0 sc1 // store D
v_cmp_u_f32 s[32:33], v[vgprValuC+25], v[vgprValuC+25] // check Nan
v_bfe_u32 v6, v[vgprValuC+25], 16, 1               // Non-Nan case: store lsb of bf16
v_add3_u32 v6, v[vgprValuC+25], v6, v9             // Non-Nan case: add lsb and the increment for rounding
v_cndmask_b32 v[vgprValuC+25], v6, v8, s[32:33]    // 
v_lshrrev_b32 v[vgprValuC+25], 16, v[vgprValuC+25] // convert C to bf16
_buffer_store_b16 v25, v10, s[sgprSrdD:sgprSrdD+3], 0, offen, offset:64,  sc0 sc1 // store D
v_cmp_u_f32 s[32:33], v[vgprValuC+26], v[vgprValuC+26] // check Nan
v_bfe_u32 v6, v[vgprValuC+26], 16, 1               // Non-Nan case: store lsb of bf16
v_add3_u32 v6, v[vgprValuC+26], v6, v9             // Non-Nan case: add lsb and the increment for rounding
v_cndmask_b32 v[vgprValuC+26], v6, v8, s[32:33]    // 
v_lshrrev_b32 v[vgprValuC+26], 16, v[vgprValuC+26] // convert C to bf16
_buffer_store_b16 v26, v10, s[sgprSrdD:sgprSrdD+3], 0, offen, offset:128,  sc0 sc1 // store D
v_cmp_u_f32 s[32:33], v[vgprValuC+27], v[vgprValuC+27] // check Nan
v_bfe_u32 v6, v[vgprValuC+27], 16, 1               // Non-Nan case: store lsb of bf16
v_add3_u32 v6, v[vgprValuC+27], v6, v9             // Non-Nan case: add lsb and the increment for rounding
v_cndmask_b32 v[vgprValuC+27], v6, v8, s[32:33]    // 
v_lshrrev_b32 v[vgprValuC+27], 16, v[vgprValuC+27] // convert C to bf16
_buffer_store_b16 v27, v10, s[sgprSrdD:sgprSrdD+3], 0, offen, offset:192,  sc0 sc1 // store D
v_cmp_u_f32 s[32:33], v[vgprValuC+28], v[vgprValuC+28] // check Nan
v_bfe_u32 v6, v[vgprValuC+28], 16, 1               // Non-Nan case: store lsb of bf16
v_add3_u32 v6, v[vgprValuC+28], v6, v9             // Non-Nan case: add lsb and the increment for rounding
v_cndmask_b32 v[vgprValuC+28], v6, v8, s[32:33]    // 
v_lshrrev_b32 v[vgprValuC+28], 16, v[vgprValuC+28] // convert C to bf16
_buffer_store_b16 v28, v10, s[sgprSrdD:sgprSrdD+3], 0, offen, offset:256,  sc0 sc1 // store D
v_cmp_u_f32 s[32:33], v[vgprValuC+29], v[vgprValuC+29] // check Nan
v_bfe_u32 v6, v[vgprValuC+29], 16, 1               // Non-Nan case: store lsb of bf16
v_add3_u32 v6, v[vgprValuC+29], v6, v9             // Non-Nan case: add lsb and the increment for rounding
v_cndmask_b32 v[vgprValuC+29], v6, v8, s[32:33]    // 
v_lshrrev_b32 v[vgprValuC+29], 16, v[vgprValuC+29] // convert C to bf16
_buffer_store_b16 v29, v10, s[sgprSrdD:sgprSrdD+3], 0, offen, offset:320,  sc0 sc1 // store D
	;; [unrolled: 39-line block ×3, first 2 shown]
v_cmp_u_f32 s[32:33], v[vgprValuC+36], v[vgprValuC+36] // check Nan
v_bfe_u32 v6, v[vgprValuC+36], 16, 1               // Non-Nan case: store lsb of bf16
v_add3_u32 v6, v[vgprValuC+36], v6, v9             // Non-Nan case: add lsb and the increment for rounding
v_cndmask_b32 v[vgprValuC+36], v6, v8, s[32:33]    // 
v_lshrrev_b32 v[vgprValuC+36], 16, v[vgprValuC+36] // convert C to bf16
s_mul_i32 s32, s[sgprStrideD1J], 58                // scale StrideD *= numRows(29) * bpe
s_add_u32  s[sgprSrdD+0], s[sgprSrdD+0], s32       // incToNextRow: gra SRD += inc(lower)
s_addc_u32  s[sgprSrdD+1], s[sgprSrdD+1], 0        // incToNextRow: gra SRD += inc(upper)
_buffer_store_b16 v36, v10, s[sgprSrdD:sgprSrdD+3], 0, offen, offset:0,  sc0 sc1 // store D
v_cmp_u_f32 s[32:33], v[vgprValuC+37], v[vgprValuC+37] // check Nan
v_bfe_u32 v6, v[vgprValuC+37], 16, 1               // Non-Nan case: store lsb of bf16
v_add3_u32 v6, v[vgprValuC+37], v6, v9             // Non-Nan case: add lsb and the increment for rounding
v_cndmask_b32 v[vgprValuC+37], v6, v8, s[32:33]    // 
v_lshrrev_b32 v[vgprValuC+37], 16, v[vgprValuC+37] // convert C to bf16
_buffer_store_b16 v37, v10, s[sgprSrdD:sgprSrdD+3], 0, offen, offset:64,  sc0 sc1 // store D
v_cmp_u_f32 s[32:33], v[vgprValuC+38], v[vgprValuC+38] // check Nan
v_bfe_u32 v6, v[vgprValuC+38], 16, 1               // Non-Nan case: store lsb of bf16
v_add3_u32 v6, v[vgprValuC+38], v6, v9             // Non-Nan case: add lsb and the increment for rounding
v_cndmask_b32 v[vgprValuC+38], v6, v8, s[32:33]    // 
v_lshrrev_b32 v[vgprValuC+38], 16, v[vgprValuC+38] // convert C to bf16
_buffer_store_b16 v38, v10, s[sgprSrdD:sgprSrdD+3], 0, offen, offset:128,  sc0 sc1 // store D
v_cmp_u_f32 s[32:33], v[vgprValuC+39], v[vgprValuC+39] // check Nan
v_bfe_u32 v6, v[vgprValuC+39], 16, 1               // Non-Nan case: store lsb of bf16
v_add3_u32 v6, v[vgprValuC+39], v6, v9             // Non-Nan case: add lsb and the increment for rounding
v_cndmask_b32 v[vgprValuC+39], v6, v8, s[32:33]    // 
v_lshrrev_b32 v[vgprValuC+39], 16, v[vgprValuC+39] // convert C to bf16
_buffer_store_b16 v39, v10, s[sgprSrdD:sgprSrdD+3], 0, offen, offset:192,  sc0 sc1 // store D
v_cmp_u_f32 s[32:33], v[vgprValuC+40], v[vgprValuC+40] // check Nan
v_bfe_u32 v6, v[vgprValuC+40], 16, 1               // Non-Nan case: store lsb of bf16
v_add3_u32 v6, v[vgprValuC+40], v6, v9             // Non-Nan case: add lsb and the increment for rounding
v_cndmask_b32 v[vgprValuC+40], v6, v8, s[32:33]    // 
v_lshrrev_b32 v[vgprValuC+40], 16, v[vgprValuC+40] // convert C to bf16
_buffer_store_b16 v40, v10, s[sgprSrdD:sgprSrdD+3], 0, offen, offset:256,  sc0 sc1 // store D
v_cmp_u_f32 s[32:33], v[vgprValuC+41], v[vgprValuC+41] // check Nan
v_bfe_u32 v6, v[vgprValuC+41], 16, 1               // Non-Nan case: store lsb of bf16
v_add3_u32 v6, v[vgprValuC+41], v6, v9             // Non-Nan case: add lsb and the increment for rounding
v_cndmask_b32 v[vgprValuC+41], v6, v8, s[32:33]    // 
v_lshrrev_b32 v[vgprValuC+41], 16, v[vgprValuC+41] // convert C to bf16
_buffer_store_b16 v41, v10, s[sgprSrdD:sgprSrdD+3], 0, offen, offset:320,  sc0 sc1 // store D
v_cmp_u_f32 s[32:33], v[vgprValuC+42], v[vgprValuC+42] // check Nan
v_bfe_u32 v6, v[vgprValuC+42], 16, 1               // Non-Nan case: store lsb of bf16
v_add3_u32 v6, v[vgprValuC+42], v6, v9             // Non-Nan case: add lsb and the increment for rounding
v_cndmask_b32 v[vgprValuC+42], v6, v8, s[32:33]    // 
v_lshrrev_b32 v[vgprValuC+42], 16, v[vgprValuC+42] // convert C to bf16
s_lshl_b32  s32, s[sgprStrideD1J], 1               // incToNextRow: Scale by BPE
s_add_u32  s[sgprSrdD+0], s[sgprSrdD+0], s32       // incToNextRow: gra SRD += inc(lower)
s_addc_u32  s[sgprSrdD+1], s[sgprSrdD+1], 0        // incToNextRow: gra SRD += inc(upper)
_buffer_store_b16 v42, v10, s[sgprSrdD:sgprSrdD+3], 0, offen, offset:0,  sc0 sc1 // store D
v_cmp_u_f32 s[32:33], v[vgprValuC+43], v[vgprValuC+43] // check Nan
v_bfe_u32 v6, v[vgprValuC+43], 16, 1               // Non-Nan case: store lsb of bf16
v_add3_u32 v6, v[vgprValuC+43], v6, v9             // Non-Nan case: add lsb and the increment for rounding
v_cndmask_b32 v[vgprValuC+43], v6, v8, s[32:33]    // 
v_lshrrev_b32 v[vgprValuC+43], 16, v[vgprValuC+43] // convert C to bf16
_buffer_store_b16 v43, v10, s[sgprSrdD:sgprSrdD+3], 0, offen, offset:64,  sc0 sc1 // store D
v_cmp_u_f32 s[32:33], v[vgprValuC+44], v[vgprValuC+44] // check Nan
v_bfe_u32 v6, v[vgprValuC+44], 16, 1               // Non-Nan case: store lsb of bf16
v_add3_u32 v6, v[vgprValuC+44], v6, v9             // Non-Nan case: add lsb and the increment for rounding
v_cndmask_b32 v[vgprValuC+44], v6, v8, s[32:33]    // 
v_lshrrev_b32 v[vgprValuC+44], 16, v[vgprValuC+44] // convert C to bf16
_buffer_store_b16 v44, v10, s[sgprSrdD:sgprSrdD+3], 0, offen, offset:128,  sc0 sc1 // store D
v_cmp_u_f32 s[32:33], v[vgprValuC+45], v[vgprValuC+45] // check Nan
v_bfe_u32 v6, v[vgprValuC+45], 16, 1               // Non-Nan case: store lsb of bf16
v_add3_u32 v6, v[vgprValuC+45], v6, v9             // Non-Nan case: add lsb and the increment for rounding
v_cndmask_b32 v[vgprValuC+45], v6, v8, s[32:33]    // 
v_lshrrev_b32 v[vgprValuC+45], 16, v[vgprValuC+45] // convert C to bf16
_buffer_store_b16 v45, v10, s[sgprSrdD:sgprSrdD+3], 0, offen, offset:192,  sc0 sc1 // store D
v_cmp_u_f32 s[32:33], v[vgprValuC+46], v[vgprValuC+46] // check Nan
v_bfe_u32 v6, v[vgprValuC+46], 16, 1               // Non-Nan case: store lsb of bf16
v_add3_u32 v6, v[vgprValuC+46], v6, v9             // Non-Nan case: add lsb and the increment for rounding
v_cndmask_b32 v[vgprValuC+46], v6, v8, s[32:33]    // 
v_lshrrev_b32 v[vgprValuC+46], 16, v[vgprValuC+46] // convert C to bf16
_buffer_store_b16 v46, v10, s[sgprSrdD:sgprSrdD+3], 0, offen, offset:256,  sc0 sc1 // store D
v_cmp_u_f32 s[32:33], v[vgprValuC+47], v[vgprValuC+47] // check Nan
v_bfe_u32 v6, v[vgprValuC+47], 16, 1               // Non-Nan case: store lsb of bf16
v_add3_u32 v6, v[vgprValuC+47], v6, v9             // Non-Nan case: add lsb and the increment for rounding
v_cndmask_b32 v[vgprValuC+47], v6, v8, s[32:33]    // 
v_lshrrev_b32 v[vgprValuC+47], 16, v[vgprValuC+47] // convert C to bf16
_buffer_store_b16 v47, v10, s[sgprSrdD:sgprSrdD+3], 0, offen, offset:320,  sc0 sc1 // store D
v_cmp_u_f32 s[32:33], v[vgprValuC+48], v[vgprValuC+48] // check Nan
v_bfe_u32 v6, v[vgprValuC+48], 16, 1               // Non-Nan case: store lsb of bf16
v_add3_u32 v6, v[vgprValuC+48], v6, v9             // Non-Nan case: add lsb and the increment for rounding
v_cndmask_b32 v[vgprValuC+48], v6, v8, s[32:33]    // 
v_lshrrev_b32 v[vgprValuC+48], 16, v[vgprValuC+48] // convert C to bf16
s_lshl_b32  s32, s[sgprStrideD1J], 1               // incToNextRow: Scale by BPE
	;; [unrolled: 39-line block ×3, first 2 shown]
s_add_u32  s[sgprSrdD+0], s[sgprSrdD+0], s32       // incToNextRow: gra SRD += inc(lower)
s_addc_u32  s[sgprSrdD+1], s[sgprSrdD+1], 0        // incToNextRow: gra SRD += inc(upper)
_buffer_store_b16 v54, v10, s[sgprSrdD:sgprSrdD+3], 0, offen, offset:0,  sc0 sc1 // store D
v_cmp_u_f32 s[32:33], v[vgprValuC+55], v[vgprValuC+55] // check Nan
v_bfe_u32 v6, v[vgprValuC+55], 16, 1               // Non-Nan case: store lsb of bf16
v_add3_u32 v6, v[vgprValuC+55], v6, v9             // Non-Nan case: add lsb and the increment for rounding
v_cndmask_b32 v[vgprValuC+55], v6, v8, s[32:33]    // 
v_lshrrev_b32 v[vgprValuC+55], 16, v[vgprValuC+55] // convert C to bf16
_buffer_store_b16 v55, v10, s[sgprSrdD:sgprSrdD+3], 0, offen, offset:64,  sc0 sc1 // store D
v_cmp_u_f32 s[32:33], v[vgprValuC+56], v[vgprValuC+56] // check Nan
v_bfe_u32 v6, v[vgprValuC+56], 16, 1               // Non-Nan case: store lsb of bf16
v_add3_u32 v6, v[vgprValuC+56], v6, v9             // Non-Nan case: add lsb and the increment for rounding
v_cndmask_b32 v[vgprValuC+56], v6, v8, s[32:33]    // 
v_lshrrev_b32 v[vgprValuC+56], 16, v[vgprValuC+56] // convert C to bf16
	;; [unrolled: 6-line block ×6, first 2 shown]
s_mul_i32 s32, s[sgprStrideD1J], 58                // scale StrideD *= numRows(29) * bpe
s_add_u32  s[sgprSrdD+0], s[sgprSrdD+0], s32       // incToNextRow: gra SRD += inc(lower)
s_addc_u32  s[sgprSrdD+1], s[sgprSrdD+1], 0        // incToNextRow: gra SRD += inc(upper)
_buffer_store_b16 v60, v10, s[sgprSrdD:sgprSrdD+3], 0, offen, offset:0,  sc0 sc1 // store D
v_cmp_u_f32 s[32:33], v[vgprValuC+61], v[vgprValuC+61] // check Nan
v_bfe_u32 v6, v[vgprValuC+61], 16, 1               // Non-Nan case: store lsb of bf16
v_add3_u32 v6, v[vgprValuC+61], v6, v9             // Non-Nan case: add lsb and the increment for rounding
v_cndmask_b32 v[vgprValuC+61], v6, v8, s[32:33]    // 
v_lshrrev_b32 v[vgprValuC+61], 16, v[vgprValuC+61] // convert C to bf16
_buffer_store_b16 v61, v10, s[sgprSrdD:sgprSrdD+3], 0, offen, offset:64,  sc0 sc1 // store D
v_cmp_u_f32 s[32:33], v[vgprValuC+62], v[vgprValuC+62] // check Nan
v_bfe_u32 v6, v[vgprValuC+62], 16, 1               // Non-Nan case: store lsb of bf16
v_add3_u32 v6, v[vgprValuC+62], v6, v9             // Non-Nan case: add lsb and the increment for rounding
v_cndmask_b32 v[vgprValuC+62], v6, v8, s[32:33]    // 
v_lshrrev_b32 v[vgprValuC+62], 16, v[vgprValuC+62] // convert C to bf16
_buffer_store_b16 v62, v10, s[sgprSrdD:sgprSrdD+3], 0, offen, offset:128,  sc0 sc1 // store D
v_cmp_u_f32 s[32:33], v[vgprValuC+63], v[vgprValuC+63] // check Nan
v_bfe_u32 v6, v[vgprValuC+63], 16, 1               // Non-Nan case: store lsb of bf16
v_add3_u32 v6, v[vgprValuC+63], v6, v9             // Non-Nan case: add lsb and the increment for rounding
v_cndmask_b32 v[vgprValuC+63], v6, v8, s[32:33]    // 
v_lshrrev_b32 v[vgprValuC+63], 16, v[vgprValuC+63] // convert C to bf16
_buffer_store_b16 v63, v10, s[sgprSrdD:sgprSrdD+3], 0, offen, offset:192,  sc0 sc1 // store D
v_cmp_u_f32 s[32:33], v[vgprValuC+64], v[vgprValuC+64] // check Nan
v_bfe_u32 v6, v[vgprValuC+64], 16, 1               // Non-Nan case: store lsb of bf16
v_add3_u32 v6, v[vgprValuC+64], v6, v9             // Non-Nan case: add lsb and the increment for rounding
v_cndmask_b32 v[vgprValuC+64], v6, v8, s[32:33]    // 
v_lshrrev_b32 v[vgprValuC+64], 16, v[vgprValuC+64] // convert C to bf16
_buffer_store_b16 v64, v10, s[sgprSrdD:sgprSrdD+3], 0, offen, offset:256,  sc0 sc1 // store D
v_cmp_u_f32 s[32:33], v[vgprValuC+65], v[vgprValuC+65] // check Nan
v_bfe_u32 v6, v[vgprValuC+65], 16, 1               // Non-Nan case: store lsb of bf16
v_add3_u32 v6, v[vgprValuC+65], v6, v9             // Non-Nan case: add lsb and the increment for rounding
v_cndmask_b32 v[vgprValuC+65], v6, v8, s[32:33]    // 
v_lshrrev_b32 v[vgprValuC+65], 16, v[vgprValuC+65] // convert C to bf16
_buffer_store_b16 v65, v10, s[sgprSrdD:sgprSrdD+3], 0, offen, offset:320,  sc0 sc1 // store D
v_cmp_u_f32 s[32:33], v[vgprValuC+66], v[vgprValuC+66] // check Nan
v_bfe_u32 v6, v[vgprValuC+66], 16, 1               // Non-Nan case: store lsb of bf16
v_add3_u32 v6, v[vgprValuC+66], v6, v9             // Non-Nan case: add lsb and the increment for rounding
v_cndmask_b32 v[vgprValuC+66], v6, v8, s[32:33]    // 
v_lshrrev_b32 v[vgprValuC+66], 16, v[vgprValuC+66] // convert C to bf16
s_lshl_b32  s32, s[sgprStrideD1J], 1               // incToNextRow: Scale by BPE
s_add_u32  s[sgprSrdD+0], s[sgprSrdD+0], s32       // incToNextRow: gra SRD += inc(lower)
s_addc_u32  s[sgprSrdD+1], s[sgprSrdD+1], 0        // incToNextRow: gra SRD += inc(upper)
_buffer_store_b16 v66, v10, s[sgprSrdD:sgprSrdD+3], 0, offen, offset:0,  sc0 sc1 // store D
v_cmp_u_f32 s[32:33], v[vgprValuC+67], v[vgprValuC+67] // check Nan
v_bfe_u32 v6, v[vgprValuC+67], 16, 1               // Non-Nan case: store lsb of bf16
v_add3_u32 v6, v[vgprValuC+67], v6, v9             // Non-Nan case: add lsb and the increment for rounding
v_cndmask_b32 v[vgprValuC+67], v6, v8, s[32:33]    // 
v_lshrrev_b32 v[vgprValuC+67], 16, v[vgprValuC+67] // convert C to bf16
_buffer_store_b16 v67, v10, s[sgprSrdD:sgprSrdD+3], 0, offen, offset:64,  sc0 sc1 // store D
v_cmp_u_f32 s[32:33], v[vgprValuC+68], v[vgprValuC+68] // check Nan
v_bfe_u32 v6, v[vgprValuC+68], 16, 1               // Non-Nan case: store lsb of bf16
v_add3_u32 v6, v[vgprValuC+68], v6, v9             // Non-Nan case: add lsb and the increment for rounding
v_cndmask_b32 v[vgprValuC+68], v6, v8, s[32:33]    // 
v_lshrrev_b32 v[vgprValuC+68], 16, v[vgprValuC+68] // convert C to bf16
_buffer_store_b16 v68, v10, s[sgprSrdD:sgprSrdD+3], 0, offen, offset:128,  sc0 sc1 // store D
v_cmp_u_f32 s[32:33], v[vgprValuC+69], v[vgprValuC+69] // check Nan
v_bfe_u32 v6, v[vgprValuC+69], 16, 1               // Non-Nan case: store lsb of bf16
v_add3_u32 v6, v[vgprValuC+69], v6, v9             // Non-Nan case: add lsb and the increment for rounding
v_cndmask_b32 v[vgprValuC+69], v6, v8, s[32:33]    // 
v_lshrrev_b32 v[vgprValuC+69], 16, v[vgprValuC+69] // convert C to bf16
_buffer_store_b16 v69, v10, s[sgprSrdD:sgprSrdD+3], 0, offen, offset:192,  sc0 sc1 // store D
v_cmp_u_f32 s[32:33], v[vgprValuC+70], v[vgprValuC+70] // check Nan
v_bfe_u32 v6, v[vgprValuC+70], 16, 1               // Non-Nan case: store lsb of bf16
v_add3_u32 v6, v[vgprValuC+70], v6, v9             // Non-Nan case: add lsb and the increment for rounding
v_cndmask_b32 v[vgprValuC+70], v6, v8, s[32:33]    // 
v_lshrrev_b32 v[vgprValuC+70], 16, v[vgprValuC+70] // convert C to bf16
_buffer_store_b16 v70, v10, s[sgprSrdD:sgprSrdD+3], 0, offen, offset:256,  sc0 sc1 // store D
v_cmp_u_f32 s[32:33], v[vgprValuC+71], v[vgprValuC+71] // check Nan
v_bfe_u32 v6, v[vgprValuC+71], 16, 1               // Non-Nan case: store lsb of bf16
v_add3_u32 v6, v[vgprValuC+71], v6, v9             // Non-Nan case: add lsb and the increment for rounding
v_cndmask_b32 v[vgprValuC+71], v6, v8, s[32:33]    // 
v_lshrrev_b32 v[vgprValuC+71], 16, v[vgprValuC+71] // convert C to bf16
_buffer_store_b16 v71, v10, s[sgprSrdD:sgprSrdD+3], 0, offen, offset:320,  sc0 sc1 // store D
v_cmp_u_f32 s[32:33], v[vgprValuC+72], v[vgprValuC+72] // check Nan
v_bfe_u32 v6, v[vgprValuC+72], 16, 1               // Non-Nan case: store lsb of bf16
v_add3_u32 v6, v[vgprValuC+72], v6, v9             // Non-Nan case: add lsb and the increment for rounding
v_cndmask_b32 v[vgprValuC+72], v6, v8, s[32:33]    // 
v_lshrrev_b32 v[vgprValuC+72], 16, v[vgprValuC+72] // convert C to bf16
s_lshl_b32  s32, s[sgprStrideD1J], 1               // incToNextRow: Scale by BPE
	;; [unrolled: 39-line block ×3, first 2 shown]
s_add_u32  s[sgprSrdD+0], s[sgprSrdD+0], s32       // incToNextRow: gra SRD += inc(lower)
s_addc_u32  s[sgprSrdD+1], s[sgprSrdD+1], 0        // incToNextRow: gra SRD += inc(upper)
_buffer_store_b16 v78, v10, s[sgprSrdD:sgprSrdD+3], 0, offen, offset:0,  sc0 sc1 // store D
v_cmp_u_f32 s[32:33], v[vgprValuC+79], v[vgprValuC+79] // check Nan
v_bfe_u32 v6, v[vgprValuC+79], 16, 1               // Non-Nan case: store lsb of bf16
v_add3_u32 v6, v[vgprValuC+79], v6, v9             // Non-Nan case: add lsb and the increment for rounding
v_cndmask_b32 v[vgprValuC+79], v6, v8, s[32:33]    // 
v_lshrrev_b32 v[vgprValuC+79], 16, v[vgprValuC+79] // convert C to bf16
_buffer_store_b16 v79, v10, s[sgprSrdD:sgprSrdD+3], 0, offen, offset:64,  sc0 sc1 // store D
v_cmp_u_f32 s[32:33], v[vgprValuC+80], v[vgprValuC+80] // check Nan
v_bfe_u32 v6, v[vgprValuC+80], 16, 1               // Non-Nan case: store lsb of bf16
v_add3_u32 v6, v[vgprValuC+80], v6, v9             // Non-Nan case: add lsb and the increment for rounding
v_cndmask_b32 v[vgprValuC+80], v6, v8, s[32:33]    // 
v_lshrrev_b32 v[vgprValuC+80], 16, v[vgprValuC+80] // convert C to bf16
	;; [unrolled: 6-line block ×6, first 2 shown]
s_mul_i32 s32, s[sgprStrideD1J], 58                // scale StrideD *= numRows(29) * bpe
s_add_u32  s[sgprSrdD+0], s[sgprSrdD+0], s32       // incToNextRow: gra SRD += inc(lower)
s_addc_u32  s[sgprSrdD+1], s[sgprSrdD+1], 0        // incToNextRow: gra SRD += inc(upper)
_buffer_store_b16 v84, v10, s[sgprSrdD:sgprSrdD+3], 0, offen, offset:0,  sc0 sc1 // store D
v_cmp_u_f32 s[32:33], v[vgprValuC+85], v[vgprValuC+85] // check Nan
v_bfe_u32 v6, v[vgprValuC+85], 16, 1               // Non-Nan case: store lsb of bf16
v_add3_u32 v6, v[vgprValuC+85], v6, v9             // Non-Nan case: add lsb and the increment for rounding
v_cndmask_b32 v[vgprValuC+85], v6, v8, s[32:33]    // 
v_lshrrev_b32 v[vgprValuC+85], 16, v[vgprValuC+85] // convert C to bf16
_buffer_store_b16 v85, v10, s[sgprSrdD:sgprSrdD+3], 0, offen, offset:64,  sc0 sc1 // store D
v_cmp_u_f32 s[32:33], v[vgprValuC+86], v[vgprValuC+86] // check Nan
v_bfe_u32 v6, v[vgprValuC+86], 16, 1               // Non-Nan case: store lsb of bf16
v_add3_u32 v6, v[vgprValuC+86], v6, v9             // Non-Nan case: add lsb and the increment for rounding
v_cndmask_b32 v[vgprValuC+86], v6, v8, s[32:33]    // 
v_lshrrev_b32 v[vgprValuC+86], 16, v[vgprValuC+86] // convert C to bf16
	;; [unrolled: 6-line block ×6, first 2 shown]
s_lshl_b32  s32, s[sgprStrideD1J], 1               // incToNextRow: Scale by BPE
s_add_u32  s[sgprSrdD+0], s[sgprSrdD+0], s32       // incToNextRow: gra SRD += inc(lower)
s_addc_u32  s[sgprSrdD+1], s[sgprSrdD+1], 0        // incToNextRow: gra SRD += inc(upper)
_buffer_store_b16 v90, v10, s[sgprSrdD:sgprSrdD+3], 0, offen, offset:0,  sc0 sc1 // store D
v_cmp_u_f32 s[32:33], v[vgprValuC+91], v[vgprValuC+91] // check Nan
v_bfe_u32 v6, v[vgprValuC+91], 16, 1               // Non-Nan case: store lsb of bf16
v_add3_u32 v6, v[vgprValuC+91], v6, v9             // Non-Nan case: add lsb and the increment for rounding
v_cndmask_b32 v[vgprValuC+91], v6, v8, s[32:33]    // 
v_lshrrev_b32 v[vgprValuC+91], 16, v[vgprValuC+91] // convert C to bf16
_buffer_store_b16 v91, v10, s[sgprSrdD:sgprSrdD+3], 0, offen, offset:64,  sc0 sc1 // store D
v_cmp_u_f32 s[32:33], v[vgprValuC+92], v[vgprValuC+92] // check Nan
v_bfe_u32 v6, v[vgprValuC+92], 16, 1               // Non-Nan case: store lsb of bf16
v_add3_u32 v6, v[vgprValuC+92], v6, v9             // Non-Nan case: add lsb and the increment for rounding
v_cndmask_b32 v[vgprValuC+92], v6, v8, s[32:33]    // 
v_lshrrev_b32 v[vgprValuC+92], 16, v[vgprValuC+92] // convert C to bf16
_buffer_store_b16 v92, v10, s[sgprSrdD:sgprSrdD+3], 0, offen, offset:128,  sc0 sc1 // store D
v_cmp_u_f32 s[32:33], v[vgprValuC+93], v[vgprValuC+93] // check Nan
v_bfe_u32 v6, v[vgprValuC+93], 16, 1               // Non-Nan case: store lsb of bf16
v_add3_u32 v6, v[vgprValuC+93], v6, v9             // Non-Nan case: add lsb and the increment for rounding
v_cndmask_b32 v[vgprValuC+93], v6, v8, s[32:33]    // 
v_lshrrev_b32 v[vgprValuC+93], 16, v[vgprValuC+93] // convert C to bf16
_buffer_store_b16 v93, v10, s[sgprSrdD:sgprSrdD+3], 0, offen, offset:192,  sc0 sc1 // store D
v_cmp_u_f32 s[32:33], v[vgprValuC+94], v[vgprValuC+94] // check Nan
v_bfe_u32 v6, v[vgprValuC+94], 16, 1               // Non-Nan case: store lsb of bf16
v_add3_u32 v6, v[vgprValuC+94], v6, v9             // Non-Nan case: add lsb and the increment for rounding
v_cndmask_b32 v[vgprValuC+94], v6, v8, s[32:33]    // 
v_lshrrev_b32 v[vgprValuC+94], 16, v[vgprValuC+94] // convert C to bf16
_buffer_store_b16 v94, v10, s[sgprSrdD:sgprSrdD+3], 0, offen, offset:256,  sc0 sc1 // store D
v_cmp_u_f32 s[32:33], v[vgprValuC+95], v[vgprValuC+95] // check Nan
v_bfe_u32 v6, v[vgprValuC+95], 16, 1               // Non-Nan case: store lsb of bf16
v_add3_u32 v6, v[vgprValuC+95], v6, v9             // Non-Nan case: add lsb and the increment for rounding
v_cndmask_b32 v[vgprValuC+95], v6, v8, s[32:33]    // 
v_lshrrev_b32 v[vgprValuC+95], 16, v[vgprValuC+95] // convert C to bf16
_buffer_store_b16 v95, v10, s[sgprSrdD:sgprSrdD+3], 0, offen, offset:320,  sc0 sc1 // store D
v_cmp_u_f32 s[32:33], v[vgprValuC+96], v[vgprValuC+96] // check Nan
v_bfe_u32 v6, v[vgprValuC+96], 16, 1               // Non-Nan case: store lsb of bf16
v_add3_u32 v6, v[vgprValuC+96], v6, v9             // Non-Nan case: add lsb and the increment for rounding
v_cndmask_b32 v[vgprValuC+96], v6, v8, s[32:33]    // 
v_lshrrev_b32 v[vgprValuC+96], 16, v[vgprValuC+96] // convert C to bf16
s_lshl_b32  s32, s[sgprStrideD1J], 1               // incToNextRow: Scale by BPE
s_add_u32  s[sgprSrdD+0], s[sgprSrdD+0], s32       // incToNextRow: gra SRD += inc(lower)
s_addc_u32  s[sgprSrdD+1], s[sgprSrdD+1], 0        // incToNextRow: gra SRD += inc(upper)
_buffer_store_b16 v96, v10, s[sgprSrdD:sgprSrdD+3], 0, offen, offset:0,  sc0 sc1 // store D
v_cmp_u_f32 s[32:33], v[vgprValuC+97], v[vgprValuC+97] // check Nan
v_bfe_u32 v6, v[vgprValuC+97], 16, 1               // Non-Nan case: store lsb of bf16
v_add3_u32 v6, v[vgprValuC+97], v6, v9             // Non-Nan case: add lsb and the increment for rounding
v_cndmask_b32 v[vgprValuC+97], v6, v8, s[32:33]    // 
v_lshrrev_b32 v[vgprValuC+97], 16, v[vgprValuC+97] // convert C to bf16
_buffer_store_b16 v97, v10, s[sgprSrdD:sgprSrdD+3], 0, offen, offset:64,  sc0 sc1 // store D
v_cmp_u_f32 s[32:33], v[vgprValuC+98], v[vgprValuC+98] // check Nan
v_bfe_u32 v6, v[vgprValuC+98], 16, 1               // Non-Nan case: store lsb of bf16
v_add3_u32 v6, v[vgprValuC+98], v6, v9             // Non-Nan case: add lsb and the increment for rounding
v_cndmask_b32 v[vgprValuC+98], v6, v8, s[32:33]    // 
v_lshrrev_b32 v[vgprValuC+98], 16, v[vgprValuC+98] // convert C to bf16
	;; [unrolled: 6-line block ×3, first 2 shown]
_buffer_store_b16 v99, v10, s[sgprSrdD:sgprSrdD+3], 0, offen, offset:192,  sc0 sc1 // store D
v_cmp_u_f32 s[32:33], v[vgprValuC+100], v[vgprValuC+100] // check Nan
v_bfe_u32 v6, v[vgprValuC+100], 16, 1              // Non-Nan case: store lsb of bf16
v_add3_u32 v6, v[vgprValuC+100], v6, v9            // Non-Nan case: add lsb and the increment for rounding
v_cndmask_b32 v[vgprValuC+100], v6, v8, s[32:33]   // 
v_lshrrev_b32 v[vgprValuC+100], 16, v[vgprValuC+100] // convert C to bf16
_buffer_store_b16 v100, v10, s[sgprSrdD:sgprSrdD+3], 0, offen, offset:256,  sc0 sc1 // store D
v_cmp_u_f32 s[32:33], v[vgprValuC+101], v[vgprValuC+101] // check Nan
v_bfe_u32 v6, v[vgprValuC+101], 16, 1              // Non-Nan case: store lsb of bf16
v_add3_u32 v6, v[vgprValuC+101], v6, v9            // Non-Nan case: add lsb and the increment for rounding
v_cndmask_b32 v[vgprValuC+101], v6, v8, s[32:33]   // 
v_lshrrev_b32 v[vgprValuC+101], 16, v[vgprValuC+101] // convert C to bf16
	;; [unrolled: 6-line block ×3, first 2 shown]
s_lshl_b32  s32, s[sgprStrideD1J], 1               // incToNextRow: Scale by BPE
s_add_u32  s[sgprSrdD+0], s[sgprSrdD+0], s32       // incToNextRow: gra SRD += inc(lower)
s_addc_u32  s[sgprSrdD+1], s[sgprSrdD+1], 0        // incToNextRow: gra SRD += inc(upper)
_buffer_store_b16 v102, v10, s[sgprSrdD:sgprSrdD+3], 0, offen, offset:0,  sc0 sc1 // store D
v_cmp_u_f32 s[32:33], v[vgprValuC+103], v[vgprValuC+103] // check Nan
v_bfe_u32 v6, v[vgprValuC+103], 16, 1              // Non-Nan case: store lsb of bf16
v_add3_u32 v6, v[vgprValuC+103], v6, v9            // Non-Nan case: add lsb and the increment for rounding
v_cndmask_b32 v[vgprValuC+103], v6, v8, s[32:33]   // 
v_lshrrev_b32 v[vgprValuC+103], 16, v[vgprValuC+103] // convert C to bf16
_buffer_store_b16 v103, v10, s[sgprSrdD:sgprSrdD+3], 0, offen, offset:64,  sc0 sc1 // store D
v_cmp_u_f32 s[32:33], v[vgprValuC+104], v[vgprValuC+104] // check Nan
v_bfe_u32 v6, v[vgprValuC+104], 16, 1              // Non-Nan case: store lsb of bf16
v_add3_u32 v6, v[vgprValuC+104], v6, v9            // Non-Nan case: add lsb and the increment for rounding
v_cndmask_b32 v[vgprValuC+104], v6, v8, s[32:33]   // 
v_lshrrev_b32 v[vgprValuC+104], 16, v[vgprValuC+104] // convert C to bf16
	;; [unrolled: 6-line block ×6, first 2 shown]
s_mul_i32 s32, s[sgprStrideD1J], 58                // scale StrideD *= numRows(29) * bpe
s_add_u32  s[sgprSrdD+0], s[sgprSrdD+0], s32       // incToNextRow: gra SRD += inc(lower)
s_addc_u32  s[sgprSrdD+1], s[sgprSrdD+1], 0        // incToNextRow: gra SRD += inc(upper)
_buffer_store_b16 v108, v10, s[sgprSrdD:sgprSrdD+3], 0, offen, offset:0,  sc0 sc1 // store D
v_cmp_u_f32 s[32:33], v[vgprValuC+109], v[vgprValuC+109] // check Nan
v_bfe_u32 v6, v[vgprValuC+109], 16, 1              // Non-Nan case: store lsb of bf16
v_add3_u32 v6, v[vgprValuC+109], v6, v9            // Non-Nan case: add lsb and the increment for rounding
v_cndmask_b32 v[vgprValuC+109], v6, v8, s[32:33]   // 
v_lshrrev_b32 v[vgprValuC+109], 16, v[vgprValuC+109] // convert C to bf16
_buffer_store_b16 v109, v10, s[sgprSrdD:sgprSrdD+3], 0, offen, offset:64,  sc0 sc1 // store D
v_cmp_u_f32 s[32:33], v[vgprValuC+110], v[vgprValuC+110] // check Nan
v_bfe_u32 v6, v[vgprValuC+110], 16, 1              // Non-Nan case: store lsb of bf16
v_add3_u32 v6, v[vgprValuC+110], v6, v9            // Non-Nan case: add lsb and the increment for rounding
v_cndmask_b32 v[vgprValuC+110], v6, v8, s[32:33]   // 
v_lshrrev_b32 v[vgprValuC+110], 16, v[vgprValuC+110] // convert C to bf16
_buffer_store_b16 v110, v10, s[sgprSrdD:sgprSrdD+3], 0, offen, offset:128,  sc0 sc1 // store D
v_cmp_u_f32 s[32:33], v[vgprValuC+111], v[vgprValuC+111] // check Nan
v_bfe_u32 v6, v[vgprValuC+111], 16, 1              // Non-Nan case: store lsb of bf16
v_add3_u32 v6, v[vgprValuC+111], v6, v9            // Non-Nan case: add lsb and the increment for rounding
v_cndmask_b32 v[vgprValuC+111], v6, v8, s[32:33]   // 
v_lshrrev_b32 v[vgprValuC+111], 16, v[vgprValuC+111] // convert C to bf16
_buffer_store_b16 v111, v10, s[sgprSrdD:sgprSrdD+3], 0, offen, offset:192,  sc0 sc1 // store D
v_cmp_u_f32 s[32:33], v[vgprValuC+112], v[vgprValuC+112] // check Nan
v_bfe_u32 v6, v[vgprValuC+112], 16, 1              // Non-Nan case: store lsb of bf16
v_add3_u32 v6, v[vgprValuC+112], v6, v9            // Non-Nan case: add lsb and the increment for rounding
v_cndmask_b32 v[vgprValuC+112], v6, v8, s[32:33]   // 
v_lshrrev_b32 v[vgprValuC+112], 16, v[vgprValuC+112] // convert C to bf16
_buffer_store_b16 v112, v10, s[sgprSrdD:sgprSrdD+3], 0, offen, offset:256,  sc0 sc1 // store D
v_cmp_u_f32 s[32:33], v[vgprValuC+113], v[vgprValuC+113] // check Nan
v_bfe_u32 v6, v[vgprValuC+113], 16, 1              // Non-Nan case: store lsb of bf16
v_add3_u32 v6, v[vgprValuC+113], v6, v9            // Non-Nan case: add lsb and the increment for rounding
v_cndmask_b32 v[vgprValuC+113], v6, v8, s[32:33]   // 
v_lshrrev_b32 v[vgprValuC+113], 16, v[vgprValuC+113] // convert C to bf16
_buffer_store_b16 v113, v10, s[sgprSrdD:sgprSrdD+3], 0, offen, offset:320,  sc0 sc1 // store D
v_cmp_u_f32 s[32:33], v[vgprValuC+114], v[vgprValuC+114] // check Nan
v_bfe_u32 v6, v[vgprValuC+114], 16, 1              // Non-Nan case: store lsb of bf16
v_add3_u32 v6, v[vgprValuC+114], v6, v9            // Non-Nan case: add lsb and the increment for rounding
v_cndmask_b32 v[vgprValuC+114], v6, v8, s[32:33]   // 
v_lshrrev_b32 v[vgprValuC+114], 16, v[vgprValuC+114] // convert C to bf16
s_lshl_b32  s32, s[sgprStrideD1J], 1               // incToNextRow: Scale by BPE
s_add_u32  s[sgprSrdD+0], s[sgprSrdD+0], s32       // incToNextRow: gra SRD += inc(lower)
s_addc_u32  s[sgprSrdD+1], s[sgprSrdD+1], 0        // incToNextRow: gra SRD += inc(upper)
_buffer_store_b16 v114, v10, s[sgprSrdD:sgprSrdD+3], 0, offen, offset:0,  sc0 sc1 // store D
v_cmp_u_f32 s[32:33], v[vgprValuC+115], v[vgprValuC+115] // check Nan
v_bfe_u32 v6, v[vgprValuC+115], 16, 1              // Non-Nan case: store lsb of bf16
v_add3_u32 v6, v[vgprValuC+115], v6, v9            // Non-Nan case: add lsb and the increment for rounding
v_cndmask_b32 v[vgprValuC+115], v6, v8, s[32:33]   // 
v_lshrrev_b32 v[vgprValuC+115], 16, v[vgprValuC+115] // convert C to bf16
_buffer_store_b16 v115, v10, s[sgprSrdD:sgprSrdD+3], 0, offen, offset:64,  sc0 sc1 // store D
v_cmp_u_f32 s[32:33], v[vgprValuC+116], v[vgprValuC+116] // check Nan
v_bfe_u32 v6, v[vgprValuC+116], 16, 1              // Non-Nan case: store lsb of bf16
v_add3_u32 v6, v[vgprValuC+116], v6, v9            // Non-Nan case: add lsb and the increment for rounding
v_cndmask_b32 v[vgprValuC+116], v6, v8, s[32:33]   // 
v_lshrrev_b32 v[vgprValuC+116], 16, v[vgprValuC+116] // convert C to bf16
_buffer_store_b16 v116, v10, s[sgprSrdD:sgprSrdD+3], 0, offen, offset:128,  sc0 sc1 // store D
v_cmp_u_f32 s[32:33], v[vgprValuC+117], v[vgprValuC+117] // check Nan
v_bfe_u32 v6, v[vgprValuC+117], 16, 1              // Non-Nan case: store lsb of bf16
v_add3_u32 v6, v[vgprValuC+117], v6, v9            // Non-Nan case: add lsb and the increment for rounding
v_cndmask_b32 v[vgprValuC+117], v6, v8, s[32:33]   // 
v_lshrrev_b32 v[vgprValuC+117], 16, v[vgprValuC+117] // convert C to bf16
_buffer_store_b16 v117, v10, s[sgprSrdD:sgprSrdD+3], 0, offen, offset:192,  sc0 sc1 // store D
v_cmp_u_f32 s[32:33], v[vgprValuC+118], v[vgprValuC+118] // check Nan
v_bfe_u32 v6, v[vgprValuC+118], 16, 1              // Non-Nan case: store lsb of bf16
v_add3_u32 v6, v[vgprValuC+118], v6, v9            // Non-Nan case: add lsb and the increment for rounding
v_cndmask_b32 v[vgprValuC+118], v6, v8, s[32:33]   // 
v_lshrrev_b32 v[vgprValuC+118], 16, v[vgprValuC+118] // convert C to bf16
_buffer_store_b16 v118, v10, s[sgprSrdD:sgprSrdD+3], 0, offen, offset:256,  sc0 sc1 // store D
v_cmp_u_f32 s[32:33], v[vgprValuC+119], v[vgprValuC+119] // check Nan
v_bfe_u32 v6, v[vgprValuC+119], 16, 1              // Non-Nan case: store lsb of bf16
v_add3_u32 v6, v[vgprValuC+119], v6, v9            // Non-Nan case: add lsb and the increment for rounding
v_cndmask_b32 v[vgprValuC+119], v6, v8, s[32:33]   // 
v_lshrrev_b32 v[vgprValuC+119], 16, v[vgprValuC+119] // convert C to bf16
_buffer_store_b16 v119, v10, s[sgprSrdD:sgprSrdD+3], 0, offen, offset:320,  sc0 sc1 // store D
v_cmp_u_f32 s[32:33], v[vgprValuC+120], v[vgprValuC+120] // check Nan
v_bfe_u32 v6, v[vgprValuC+120], 16, 1              // Non-Nan case: store lsb of bf16
v_add3_u32 v6, v[vgprValuC+120], v6, v9            // Non-Nan case: add lsb and the increment for rounding
v_cndmask_b32 v[vgprValuC+120], v6, v8, s[32:33]   // 
v_lshrrev_b32 v[vgprValuC+120], 16, v[vgprValuC+120] // convert C to bf16
s_lshl_b32  s32, s[sgprStrideD1J], 1               // incToNextRow: Scale by BPE
	;; [unrolled: 39-line block ×3, first 2 shown]
s_add_u32  s[sgprSrdD+0], s[sgprSrdD+0], s32       // incToNextRow: gra SRD += inc(lower)
s_addc_u32  s[sgprSrdD+1], s[sgprSrdD+1], 0        // incToNextRow: gra SRD += inc(upper)
_buffer_store_b16 v126, v10, s[sgprSrdD:sgprSrdD+3], 0, offen, offset:0,  sc0 sc1 // store D
v_cmp_u_f32 s[32:33], v[vgprValuC+127], v[vgprValuC+127] // check Nan
v_bfe_u32 v6, v[vgprValuC+127], 16, 1              // Non-Nan case: store lsb of bf16
v_add3_u32 v6, v[vgprValuC+127], v6, v9            // Non-Nan case: add lsb and the increment for rounding
v_cndmask_b32 v[vgprValuC+127], v6, v8, s[32:33]   // 
v_lshrrev_b32 v[vgprValuC+127], 16, v[vgprValuC+127] // convert C to bf16
_buffer_store_b16 v127, v10, s[sgprSrdD:sgprSrdD+3], 0, offen, offset:64,  sc0 sc1 // store D
v_cmp_u_f32 s[32:33], v[vgprValuC+128], v[vgprValuC+128] // check Nan
v_bfe_u32 v6, v[vgprValuC+128], 16, 1              // Non-Nan case: store lsb of bf16
v_add3_u32 v6, v[vgprValuC+128], v6, v9            // Non-Nan case: add lsb and the increment for rounding
v_cndmask_b32 v[vgprValuC+128], v6, v8, s[32:33]   // 
v_lshrrev_b32 v[vgprValuC+128], 16, v[vgprValuC+128] // convert C to bf16
	;; [unrolled: 6-line block ×6, first 2 shown]
s_mul_i32 s32, s[sgprStrideD1J], 58                // scale StrideD *= numRows(29) * bpe
s_add_u32  s[sgprSrdD+0], s[sgprSrdD+0], s32       // incToNextRow: gra SRD += inc(lower)
s_addc_u32  s[sgprSrdD+1], s[sgprSrdD+1], 0        // incToNextRow: gra SRD += inc(upper)
_buffer_store_b16 v132, v10, s[sgprSrdD:sgprSrdD+3], 0, offen, offset:0,  sc0 sc1 // store D
v_cmp_u_f32 s[32:33], v[vgprValuC+133], v[vgprValuC+133] // check Nan
v_bfe_u32 v6, v[vgprValuC+133], 16, 1              // Non-Nan case: store lsb of bf16
v_add3_u32 v6, v[vgprValuC+133], v6, v9            // Non-Nan case: add lsb and the increment for rounding
v_cndmask_b32 v[vgprValuC+133], v6, v8, s[32:33]   // 
v_lshrrev_b32 v[vgprValuC+133], 16, v[vgprValuC+133] // convert C to bf16
_buffer_store_b16 v133, v10, s[sgprSrdD:sgprSrdD+3], 0, offen, offset:64,  sc0 sc1 // store D
v_cmp_u_f32 s[32:33], v[vgprValuC+134], v[vgprValuC+134] // check Nan
v_bfe_u32 v6, v[vgprValuC+134], 16, 1              // Non-Nan case: store lsb of bf16
v_add3_u32 v6, v[vgprValuC+134], v6, v9            // Non-Nan case: add lsb and the increment for rounding
v_cndmask_b32 v[vgprValuC+134], v6, v8, s[32:33]   // 
v_lshrrev_b32 v[vgprValuC+134], 16, v[vgprValuC+134] // convert C to bf16
_buffer_store_b16 v134, v10, s[sgprSrdD:sgprSrdD+3], 0, offen, offset:128,  sc0 sc1 // store D
v_cmp_u_f32 s[32:33], v[vgprValuC+135], v[vgprValuC+135] // check Nan
v_bfe_u32 v6, v[vgprValuC+135], 16, 1              // Non-Nan case: store lsb of bf16
v_add3_u32 v6, v[vgprValuC+135], v6, v9            // Non-Nan case: add lsb and the increment for rounding
v_cndmask_b32 v[vgprValuC+135], v6, v8, s[32:33]   // 
v_lshrrev_b32 v[vgprValuC+135], 16, v[vgprValuC+135] // convert C to bf16
_buffer_store_b16 v135, v10, s[sgprSrdD:sgprSrdD+3], 0, offen, offset:192,  sc0 sc1 // store D
v_cmp_u_f32 s[32:33], v[vgprValuC+136], v[vgprValuC+136] // check Nan
v_bfe_u32 v6, v[vgprValuC+136], 16, 1              // Non-Nan case: store lsb of bf16
v_add3_u32 v6, v[vgprValuC+136], v6, v9            // Non-Nan case: add lsb and the increment for rounding
v_cndmask_b32 v[vgprValuC+136], v6, v8, s[32:33]   // 
v_lshrrev_b32 v[vgprValuC+136], 16, v[vgprValuC+136] // convert C to bf16
_buffer_store_b16 v136, v10, s[sgprSrdD:sgprSrdD+3], 0, offen, offset:256,  sc0 sc1 // store D
v_cmp_u_f32 s[32:33], v[vgprValuC+137], v[vgprValuC+137] // check Nan
v_bfe_u32 v6, v[vgprValuC+137], 16, 1              // Non-Nan case: store lsb of bf16
v_add3_u32 v6, v[vgprValuC+137], v6, v9            // Non-Nan case: add lsb and the increment for rounding
v_cndmask_b32 v[vgprValuC+137], v6, v8, s[32:33]   // 
v_lshrrev_b32 v[vgprValuC+137], 16, v[vgprValuC+137] // convert C to bf16
_buffer_store_b16 v137, v10, s[sgprSrdD:sgprSrdD+3], 0, offen, offset:320,  sc0 sc1 // store D
v_cmp_u_f32 s[32:33], v[vgprValuC+138], v[vgprValuC+138] // check Nan
v_bfe_u32 v6, v[vgprValuC+138], 16, 1              // Non-Nan case: store lsb of bf16
v_add3_u32 v6, v[vgprValuC+138], v6, v9            // Non-Nan case: add lsb and the increment for rounding
v_cndmask_b32 v[vgprValuC+138], v6, v8, s[32:33]   // 
v_lshrrev_b32 v[vgprValuC+138], 16, v[vgprValuC+138] // convert C to bf16
s_lshl_b32  s32, s[sgprStrideD1J], 1               // incToNextRow: Scale by BPE
s_add_u32  s[sgprSrdD+0], s[sgprSrdD+0], s32       // incToNextRow: gra SRD += inc(lower)
s_addc_u32  s[sgprSrdD+1], s[sgprSrdD+1], 0        // incToNextRow: gra SRD += inc(upper)
_buffer_store_b16 v138, v10, s[sgprSrdD:sgprSrdD+3], 0, offen, offset:0,  sc0 sc1 // store D
v_cmp_u_f32 s[32:33], v[vgprValuC+139], v[vgprValuC+139] // check Nan
v_bfe_u32 v6, v[vgprValuC+139], 16, 1              // Non-Nan case: store lsb of bf16
v_add3_u32 v6, v[vgprValuC+139], v6, v9            // Non-Nan case: add lsb and the increment for rounding
v_cndmask_b32 v[vgprValuC+139], v6, v8, s[32:33]   // 
v_lshrrev_b32 v[vgprValuC+139], 16, v[vgprValuC+139] // convert C to bf16
_buffer_store_b16 v139, v10, s[sgprSrdD:sgprSrdD+3], 0, offen, offset:64,  sc0 sc1 // store D
v_cmp_u_f32 s[32:33], v[vgprValuC+140], v[vgprValuC+140] // check Nan
v_bfe_u32 v6, v[vgprValuC+140], 16, 1              // Non-Nan case: store lsb of bf16
v_add3_u32 v6, v[vgprValuC+140], v6, v9            // Non-Nan case: add lsb and the increment for rounding
v_cndmask_b32 v[vgprValuC+140], v6, v8, s[32:33]   // 
v_lshrrev_b32 v[vgprValuC+140], 16, v[vgprValuC+140] // convert C to bf16
_buffer_store_b16 v140, v10, s[sgprSrdD:sgprSrdD+3], 0, offen, offset:128,  sc0 sc1 // store D
v_cmp_u_f32 s[32:33], v[vgprValuC+141], v[vgprValuC+141] // check Nan
v_bfe_u32 v6, v[vgprValuC+141], 16, 1              // Non-Nan case: store lsb of bf16
v_add3_u32 v6, v[vgprValuC+141], v6, v9            // Non-Nan case: add lsb and the increment for rounding
v_cndmask_b32 v[vgprValuC+141], v6, v8, s[32:33]   // 
v_lshrrev_b32 v[vgprValuC+141], 16, v[vgprValuC+141] // convert C to bf16
_buffer_store_b16 v141, v10, s[sgprSrdD:sgprSrdD+3], 0, offen, offset:192,  sc0 sc1 // store D
v_cmp_u_f32 s[32:33], v[vgprValuC+142], v[vgprValuC+142] // check Nan
v_bfe_u32 v6, v[vgprValuC+142], 16, 1              // Non-Nan case: store lsb of bf16
v_add3_u32 v6, v[vgprValuC+142], v6, v9            // Non-Nan case: add lsb and the increment for rounding
v_cndmask_b32 v[vgprValuC+142], v6, v8, s[32:33]   // 
v_lshrrev_b32 v[vgprValuC+142], 16, v[vgprValuC+142] // convert C to bf16
_buffer_store_b16 v142, v10, s[sgprSrdD:sgprSrdD+3], 0, offen, offset:256,  sc0 sc1 // store D
v_cmp_u_f32 s[32:33], v[vgprValuC+143], v[vgprValuC+143] // check Nan
v_bfe_u32 v6, v[vgprValuC+143], 16, 1              // Non-Nan case: store lsb of bf16
v_add3_u32 v6, v[vgprValuC+143], v6, v9            // Non-Nan case: add lsb and the increment for rounding
v_cndmask_b32 v[vgprValuC+143], v6, v8, s[32:33]   // 
v_lshrrev_b32 v[vgprValuC+143], 16, v[vgprValuC+143] // convert C to bf16
_buffer_store_b16 v143, v10, s[sgprSrdD:sgprSrdD+3], 0, offen, offset:320,  sc0 sc1 // store D
v_cmp_u_f32 s[32:33], v[vgprValuC+144], v[vgprValuC+144] // check Nan
v_bfe_u32 v6, v[vgprValuC+144], 16, 1              // Non-Nan case: store lsb of bf16
v_add3_u32 v6, v[vgprValuC+144], v6, v9            // Non-Nan case: add lsb and the increment for rounding
v_cndmask_b32 v[vgprValuC+144], v6, v8, s[32:33]   // 
v_lshrrev_b32 v[vgprValuC+144], 16, v[vgprValuC+144] // convert C to bf16
s_lshl_b32  s32, s[sgprStrideD1J], 1               // incToNextRow: Scale by BPE
	;; [unrolled: 39-line block ×3, first 2 shown]
s_add_u32  s[sgprSrdD+0], s[sgprSrdD+0], s32       // incToNextRow: gra SRD += inc(lower)
s_addc_u32  s[sgprSrdD+1], s[sgprSrdD+1], 0        // incToNextRow: gra SRD += inc(upper)
_buffer_store_b16 v150, v10, s[sgprSrdD:sgprSrdD+3], 0, offen, offset:0,  sc0 sc1 // store D
v_cmp_u_f32 s[32:33], v[vgprValuC+151], v[vgprValuC+151] // check Nan
v_bfe_u32 v6, v[vgprValuC+151], 16, 1              // Non-Nan case: store lsb of bf16
v_add3_u32 v6, v[vgprValuC+151], v6, v9            // Non-Nan case: add lsb and the increment for rounding
v_cndmask_b32 v[vgprValuC+151], v6, v8, s[32:33]   // 
v_lshrrev_b32 v[vgprValuC+151], 16, v[vgprValuC+151] // convert C to bf16
_buffer_store_b16 v151, v10, s[sgprSrdD:sgprSrdD+3], 0, offen, offset:64,  sc0 sc1 // store D
v_cmp_u_f32 s[32:33], v[vgprValuC+152], v[vgprValuC+152] // check Nan
v_bfe_u32 v6, v[vgprValuC+152], 16, 1              // Non-Nan case: store lsb of bf16
v_add3_u32 v6, v[vgprValuC+152], v6, v9            // Non-Nan case: add lsb and the increment for rounding
v_cndmask_b32 v[vgprValuC+152], v6, v8, s[32:33]   // 
v_lshrrev_b32 v[vgprValuC+152], 16, v[vgprValuC+152] // convert C to bf16
_buffer_store_b16 v152, v10, s[sgprSrdD:sgprSrdD+3], 0, offen, offset:128,  sc0 sc1 // store D
v_cmp_u_f32 s[32:33], v[vgprValuC+153], v[vgprValuC+153] // check Nan
v_bfe_u32 v6, v[vgprValuC+153], 16, 1              // Non-Nan case: store lsb of bf16
v_add3_u32 v6, v[vgprValuC+153], v6, v9            // Non-Nan case: add lsb and the increment for rounding
v_cndmask_b32 v[vgprValuC+153], v6, v8, s[32:33]   // 
v_lshrrev_b32 v[vgprValuC+153], 16, v[vgprValuC+153] // convert C to bf16
_buffer_store_b16 v153, v10, s[sgprSrdD:sgprSrdD+3], 0, offen, offset:192,  sc0 sc1 // store D
v_cmp_u_f32 s[32:33], v[vgprValuC+154], v[vgprValuC+154] // check Nan
v_bfe_u32 v6, v[vgprValuC+154], 16, 1              // Non-Nan case: store lsb of bf16
v_add3_u32 v6, v[vgprValuC+154], v6, v9            // Non-Nan case: add lsb and the increment for rounding
v_cndmask_b32 v[vgprValuC+154], v6, v8, s[32:33]   // 
v_lshrrev_b32 v[vgprValuC+154], 16, v[vgprValuC+154] // convert C to bf16
_buffer_store_b16 v154, v10, s[sgprSrdD:sgprSrdD+3], 0, offen, offset:256,  sc0 sc1 // store D
v_cmp_u_f32 s[32:33], v[vgprValuC+155], v[vgprValuC+155] // check Nan
v_bfe_u32 v6, v[vgprValuC+155], 16, 1              // Non-Nan case: store lsb of bf16
v_add3_u32 v6, v[vgprValuC+155], v6, v9            // Non-Nan case: add lsb and the increment for rounding
v_cndmask_b32 v[vgprValuC+155], v6, v8, s[32:33]   // 
v_lshrrev_b32 v[vgprValuC+155], 16, v[vgprValuC+155] // convert C to bf16
_buffer_store_b16 v155, v10, s[sgprSrdD:sgprSrdD+3], 0, offen, offset:320,  sc0 sc1 // store D
v_cmp_u_f32 s[32:33], v[vgprValuC+156], v[vgprValuC+156] // check Nan
v_bfe_u32 v6, v[vgprValuC+156], 16, 1              // Non-Nan case: store lsb of bf16
v_add3_u32 v6, v[vgprValuC+156], v6, v9            // Non-Nan case: add lsb and the increment for rounding
v_cndmask_b32 v[vgprValuC+156], v6, v8, s[32:33]   // 
v_lshrrev_b32 v[vgprValuC+156], 16, v[vgprValuC+156] // convert C to bf16
s_mul_i32 s32, s[sgprStrideD1J], 58                // scale StrideD *= numRows(29) * bpe
s_add_u32  s[sgprSrdD+0], s[sgprSrdD+0], s32       // incToNextRow: gra SRD += inc(lower)
s_addc_u32  s[sgprSrdD+1], s[sgprSrdD+1], 0        // incToNextRow: gra SRD += inc(upper)
_buffer_store_b16 v156, v10, s[sgprSrdD:sgprSrdD+3], 0, offen, offset:0,  sc0 sc1 // store D
v_cmp_u_f32 s[32:33], v[vgprValuC+157], v[vgprValuC+157] // check Nan
v_bfe_u32 v6, v[vgprValuC+157], 16, 1              // Non-Nan case: store lsb of bf16
v_add3_u32 v6, v[vgprValuC+157], v6, v9            // Non-Nan case: add lsb and the increment for rounding
v_cndmask_b32 v[vgprValuC+157], v6, v8, s[32:33]   // 
v_lshrrev_b32 v[vgprValuC+157], 16, v[vgprValuC+157] // convert C to bf16
_buffer_store_b16 v157, v10, s[sgprSrdD:sgprSrdD+3], 0, offen, offset:64,  sc0 sc1 // store D
v_cmp_u_f32 s[32:33], v[vgprValuC+158], v[vgprValuC+158] // check Nan
v_bfe_u32 v6, v[vgprValuC+158], 16, 1              // Non-Nan case: store lsb of bf16
v_add3_u32 v6, v[vgprValuC+158], v6, v9            // Non-Nan case: add lsb and the increment for rounding
v_cndmask_b32 v[vgprValuC+158], v6, v8, s[32:33]   // 
v_lshrrev_b32 v[vgprValuC+158], 16, v[vgprValuC+158] // convert C to bf16
_buffer_store_b16 v158, v10, s[sgprSrdD:sgprSrdD+3], 0, offen, offset:128,  sc0 sc1 // store D
v_cmp_u_f32 s[32:33], v[vgprValuC+159], v[vgprValuC+159] // check Nan
v_bfe_u32 v6, v[vgprValuC+159], 16, 1              // Non-Nan case: store lsb of bf16
v_add3_u32 v6, v[vgprValuC+159], v6, v9            // Non-Nan case: add lsb and the increment for rounding
v_cndmask_b32 v[vgprValuC+159], v6, v8, s[32:33]   // 
v_lshrrev_b32 v[vgprValuC+159], 16, v[vgprValuC+159] // convert C to bf16
_buffer_store_b16 v159, v10, s[sgprSrdD:sgprSrdD+3], 0, offen, offset:192,  sc0 sc1 // store D
v_cmp_u_f32 s[32:33], v[vgprValuC+160], v[vgprValuC+160] // check Nan
v_bfe_u32 v6, v[vgprValuC+160], 16, 1              // Non-Nan case: store lsb of bf16
v_add3_u32 v6, v[vgprValuC+160], v6, v9            // Non-Nan case: add lsb and the increment for rounding
v_cndmask_b32 v[vgprValuC+160], v6, v8, s[32:33]   // 
v_lshrrev_b32 v[vgprValuC+160], 16, v[vgprValuC+160] // convert C to bf16
_buffer_store_b16 v160, v10, s[sgprSrdD:sgprSrdD+3], 0, offen, offset:256,  sc0 sc1 // store D
v_cmp_u_f32 s[32:33], v[vgprValuC+161], v[vgprValuC+161] // check Nan
v_bfe_u32 v6, v[vgprValuC+161], 16, 1              // Non-Nan case: store lsb of bf16
v_add3_u32 v6, v[vgprValuC+161], v6, v9            // Non-Nan case: add lsb and the increment for rounding
v_cndmask_b32 v[vgprValuC+161], v6, v8, s[32:33]   // 
v_lshrrev_b32 v[vgprValuC+161], 16, v[vgprValuC+161] // convert C to bf16
_buffer_store_b16 v161, v10, s[sgprSrdD:sgprSrdD+3], 0, offen, offset:320,  sc0 sc1 // store D
v_cmp_u_f32 s[32:33], v[vgprValuC+162], v[vgprValuC+162] // check Nan
v_bfe_u32 v6, v[vgprValuC+162], 16, 1              // Non-Nan case: store lsb of bf16
v_add3_u32 v6, v[vgprValuC+162], v6, v9            // Non-Nan case: add lsb and the increment for rounding
v_cndmask_b32 v[vgprValuC+162], v6, v8, s[32:33]   // 
v_lshrrev_b32 v[vgprValuC+162], 16, v[vgprValuC+162] // convert C to bf16
s_lshl_b32  s32, s[sgprStrideD1J], 1               // incToNextRow: Scale by BPE
s_add_u32  s[sgprSrdD+0], s[sgprSrdD+0], s32       // incToNextRow: gra SRD += inc(lower)
s_addc_u32  s[sgprSrdD+1], s[sgprSrdD+1], 0        // incToNextRow: gra SRD += inc(upper)
_buffer_store_b16 v162, v10, s[sgprSrdD:sgprSrdD+3], 0, offen, offset:0,  sc0 sc1 // store D
v_cmp_u_f32 s[32:33], v[vgprValuC+163], v[vgprValuC+163] // check Nan
v_bfe_u32 v6, v[vgprValuC+163], 16, 1              // Non-Nan case: store lsb of bf16
v_add3_u32 v6, v[vgprValuC+163], v6, v9            // Non-Nan case: add lsb and the increment for rounding
v_cndmask_b32 v[vgprValuC+163], v6, v8, s[32:33]   // 
v_lshrrev_b32 v[vgprValuC+163], 16, v[vgprValuC+163] // convert C to bf16
_buffer_store_b16 v163, v10, s[sgprSrdD:sgprSrdD+3], 0, offen, offset:64,  sc0 sc1 // store D
v_cmp_u_f32 s[32:33], v[vgprValuC+164], v[vgprValuC+164] // check Nan
v_bfe_u32 v6, v[vgprValuC+164], 16, 1              // Non-Nan case: store lsb of bf16
v_add3_u32 v6, v[vgprValuC+164], v6, v9            // Non-Nan case: add lsb and the increment for rounding
v_cndmask_b32 v[vgprValuC+164], v6, v8, s[32:33]   // 
v_lshrrev_b32 v[vgprValuC+164], 16, v[vgprValuC+164] // convert C to bf16
_buffer_store_b16 v164, v10, s[sgprSrdD:sgprSrdD+3], 0, offen, offset:128,  sc0 sc1 // store D
v_cmp_u_f32 s[32:33], v[vgprValuC+165], v[vgprValuC+165] // check Nan
v_bfe_u32 v6, v[vgprValuC+165], 16, 1              // Non-Nan case: store lsb of bf16
v_add3_u32 v6, v[vgprValuC+165], v6, v9            // Non-Nan case: add lsb and the increment for rounding
v_cndmask_b32 v[vgprValuC+165], v6, v8, s[32:33]   // 
v_lshrrev_b32 v[vgprValuC+165], 16, v[vgprValuC+165] // convert C to bf16
_buffer_store_b16 v165, v10, s[sgprSrdD:sgprSrdD+3], 0, offen, offset:192,  sc0 sc1 // store D
v_cmp_u_f32 s[32:33], v[vgprValuC+166], v[vgprValuC+166] // check Nan
v_bfe_u32 v6, v[vgprValuC+166], 16, 1              // Non-Nan case: store lsb of bf16
v_add3_u32 v6, v[vgprValuC+166], v6, v9            // Non-Nan case: add lsb and the increment for rounding
v_cndmask_b32 v[vgprValuC+166], v6, v8, s[32:33]   // 
v_lshrrev_b32 v[vgprValuC+166], 16, v[vgprValuC+166] // convert C to bf16
_buffer_store_b16 v166, v10, s[sgprSrdD:sgprSrdD+3], 0, offen, offset:256,  sc0 sc1 // store D
v_cmp_u_f32 s[32:33], v[vgprValuC+167], v[vgprValuC+167] // check Nan
v_bfe_u32 v6, v[vgprValuC+167], 16, 1              // Non-Nan case: store lsb of bf16
v_add3_u32 v6, v[vgprValuC+167], v6, v9            // Non-Nan case: add lsb and the increment for rounding
v_cndmask_b32 v[vgprValuC+167], v6, v8, s[32:33]   // 
v_lshrrev_b32 v[vgprValuC+167], 16, v[vgprValuC+167] // convert C to bf16
_buffer_store_b16 v167, v10, s[sgprSrdD:sgprSrdD+3], 0, offen, offset:320,  sc0 sc1 // store D
v_cmp_u_f32 s[32:33], v[vgprValuC+168], v[vgprValuC+168] // check Nan
v_bfe_u32 v6, v[vgprValuC+168], 16, 1              // Non-Nan case: store lsb of bf16
v_add3_u32 v6, v[vgprValuC+168], v6, v9            // Non-Nan case: add lsb and the increment for rounding
v_cndmask_b32 v[vgprValuC+168], v6, v8, s[32:33]   // 
v_lshrrev_b32 v[vgprValuC+168], 16, v[vgprValuC+168] // convert C to bf16
s_lshl_b32  s32, s[sgprStrideD1J], 1               // incToNextRow: Scale by BPE
	;; [unrolled: 39-line block ×3, first 2 shown]
s_add_u32  s[sgprSrdD+0], s[sgprSrdD+0], s32       // incToNextRow: gra SRD += inc(lower)
s_addc_u32  s[sgprSrdD+1], s[sgprSrdD+1], 0        // incToNextRow: gra SRD += inc(upper)
_buffer_store_b16 v177, v10, s[sgprSrdD:sgprSrdD+3], 0, offen, offset:0,  sc0 sc1 // store D
v_cmp_u_f32 s[32:33], v[vgprValuC+178], v[vgprValuC+178] // check Nan
v_bfe_u32 v6, v[vgprValuC+178], 16, 1              // Non-Nan case: store lsb of bf16
v_add3_u32 v6, v[vgprValuC+178], v6, v9            // Non-Nan case: add lsb and the increment for rounding
v_cndmask_b32 v[vgprValuC+178], v6, v8, s[32:33]   // 
v_lshrrev_b32 v[vgprValuC+178], 16, v[vgprValuC+178] // convert C to bf16
_buffer_store_b16 v178, v10, s[sgprSrdD:sgprSrdD+3], 0, offen, offset:64,  sc0 sc1 // store D
v_cmp_u_f32 s[32:33], v[vgprValuC+179], v[vgprValuC+179] // check Nan
v_bfe_u32 v6, v[vgprValuC+179], 16, 1              // Non-Nan case: store lsb of bf16
v_add3_u32 v6, v[vgprValuC+179], v6, v9            // Non-Nan case: add lsb and the increment for rounding
v_cndmask_b32 v[vgprValuC+179], v6, v8, s[32:33]   // 
v_lshrrev_b32 v[vgprValuC+179], 16, v[vgprValuC+179] // convert C to bf16
	;; [unrolled: 6-line block ×6, first 2 shown]
s_mul_i32 s32, s[sgprStrideD1J], 58                // scale StrideD *= numRows(29) * bpe
s_add_u32  s[sgprSrdD+0], s[sgprSrdD+0], s32       // incToNextRow: gra SRD += inc(lower)
s_addc_u32  s[sgprSrdD+1], s[sgprSrdD+1], 0        // incToNextRow: gra SRD += inc(upper)
_buffer_store_b16 v183, v10, s[sgprSrdD:sgprSrdD+3], 0, offen, offset:0,  sc0 sc1 // store D
v_cmp_u_f32 s[32:33], v[vgprValuC+184], v[vgprValuC+184] // check Nan
v_bfe_u32 v6, v[vgprValuC+184], 16, 1              // Non-Nan case: store lsb of bf16
v_add3_u32 v6, v[vgprValuC+184], v6, v9            // Non-Nan case: add lsb and the increment for rounding
v_cndmask_b32 v[vgprValuC+184], v6, v8, s[32:33]   // 
v_lshrrev_b32 v[vgprValuC+184], 16, v[vgprValuC+184] // convert C to bf16
_buffer_store_b16 v184, v10, s[sgprSrdD:sgprSrdD+3], 0, offen, offset:64,  sc0 sc1 // store D
v_cmp_u_f32 s[32:33], v[vgprValuC+185], v[vgprValuC+185] // check Nan
v_bfe_u32 v6, v[vgprValuC+185], 16, 1              // Non-Nan case: store lsb of bf16
v_add3_u32 v6, v[vgprValuC+185], v6, v9            // Non-Nan case: add lsb and the increment for rounding
v_cndmask_b32 v[vgprValuC+185], v6, v8, s[32:33]   // 
v_lshrrev_b32 v[vgprValuC+185], 16, v[vgprValuC+185] // convert C to bf16
_buffer_store_b16 v185, v10, s[sgprSrdD:sgprSrdD+3], 0, offen, offset:128,  sc0 sc1 // store D
v_cmp_u_f32 s[32:33], v[vgprValuC+186], v[vgprValuC+186] // check Nan
v_bfe_u32 v6, v[vgprValuC+186], 16, 1              // Non-Nan case: store lsb of bf16
v_add3_u32 v6, v[vgprValuC+186], v6, v9            // Non-Nan case: add lsb and the increment for rounding
v_cndmask_b32 v[vgprValuC+186], v6, v8, s[32:33]   // 
v_lshrrev_b32 v[vgprValuC+186], 16, v[vgprValuC+186] // convert C to bf16
_buffer_store_b16 v186, v10, s[sgprSrdD:sgprSrdD+3], 0, offen, offset:192,  sc0 sc1 // store D
v_cmp_u_f32 s[32:33], v[vgprValuC+187], v[vgprValuC+187] // check Nan
v_bfe_u32 v6, v[vgprValuC+187], 16, 1              // Non-Nan case: store lsb of bf16
v_add3_u32 v6, v[vgprValuC+187], v6, v9            // Non-Nan case: add lsb and the increment for rounding
v_cndmask_b32 v[vgprValuC+187], v6, v8, s[32:33]   // 
v_lshrrev_b32 v[vgprValuC+187], 16, v[vgprValuC+187] // convert C to bf16
_buffer_store_b16 v187, v10, s[sgprSrdD:sgprSrdD+3], 0, offen, offset:256,  sc0 sc1 // store D
v_cmp_u_f32 s[32:33], v[vgprValuC+188], v[vgprValuC+188] // check Nan
v_bfe_u32 v6, v[vgprValuC+188], 16, 1              // Non-Nan case: store lsb of bf16
v_add3_u32 v6, v[vgprValuC+188], v6, v9            // Non-Nan case: add lsb and the increment for rounding
v_cndmask_b32 v[vgprValuC+188], v6, v8, s[32:33]   // 
v_lshrrev_b32 v[vgprValuC+188], 16, v[vgprValuC+188] // convert C to bf16
_buffer_store_b16 v188, v10, s[sgprSrdD:sgprSrdD+3], 0, offen, offset:320,  sc0 sc1 // store D
v_cmp_u_f32 s[32:33], v[vgprValuC+189], v[vgprValuC+189] // check Nan
v_bfe_u32 v6, v[vgprValuC+189], 16, 1              // Non-Nan case: store lsb of bf16
v_add3_u32 v6, v[vgprValuC+189], v6, v9            // Non-Nan case: add lsb and the increment for rounding
v_cndmask_b32 v[vgprValuC+189], v6, v8, s[32:33]   // 
v_lshrrev_b32 v[vgprValuC+189], 16, v[vgprValuC+189] // convert C to bf16
s_lshl_b32  s32, s[sgprStrideD1J], 1               // incToNextRow: Scale by BPE
s_add_u32  s[sgprSrdD+0], s[sgprSrdD+0], s32       // incToNextRow: gra SRD += inc(lower)
s_addc_u32  s[sgprSrdD+1], s[sgprSrdD+1], 0        // incToNextRow: gra SRD += inc(upper)
_buffer_store_b16 v189, v10, s[sgprSrdD:sgprSrdD+3], 0, offen, offset:0,  sc0 sc1 // store D
v_cmp_u_f32 s[32:33], v[vgprValuC+190], v[vgprValuC+190] // check Nan
v_bfe_u32 v6, v[vgprValuC+190], 16, 1              // Non-Nan case: store lsb of bf16
v_add3_u32 v6, v[vgprValuC+190], v6, v9            // Non-Nan case: add lsb and the increment for rounding
v_cndmask_b32 v[vgprValuC+190], v6, v8, s[32:33]   // 
v_lshrrev_b32 v[vgprValuC+190], 16, v[vgprValuC+190] // convert C to bf16
_buffer_store_b16 v190, v10, s[sgprSrdD:sgprSrdD+3], 0, offen, offset:64,  sc0 sc1 // store D
v_cmp_u_f32 s[32:33], v[vgprValuC+191], v[vgprValuC+191] // check Nan
v_bfe_u32 v6, v[vgprValuC+191], 16, 1              // Non-Nan case: store lsb of bf16
v_add3_u32 v6, v[vgprValuC+191], v6, v9            // Non-Nan case: add lsb and the increment for rounding
v_cndmask_b32 v[vgprValuC+191], v6, v8, s[32:33]   // 
v_lshrrev_b32 v[vgprValuC+191], 16, v[vgprValuC+191] // convert C to bf16
_buffer_store_b16 v191, v10, s[sgprSrdD:sgprSrdD+3], 0, offen, offset:128,  sc0 sc1 // store D
v_cmp_u_f32 s[32:33], v[vgprValuC+192], v[vgprValuC+192] // check Nan
v_bfe_u32 v6, v[vgprValuC+192], 16, 1              // Non-Nan case: store lsb of bf16
v_add3_u32 v6, v[vgprValuC+192], v6, v9            // Non-Nan case: add lsb and the increment for rounding
v_cndmask_b32 v[vgprValuC+192], v6, v8, s[32:33]   // 
v_lshrrev_b32 v[vgprValuC+192], 16, v[vgprValuC+192] // convert C to bf16
_buffer_store_b16 v192, v10, s[sgprSrdD:sgprSrdD+3], 0, offen, offset:192,  sc0 sc1 // store D
v_cmp_u_f32 s[32:33], v[vgprValuC+193], v[vgprValuC+193] // check Nan
v_bfe_u32 v6, v[vgprValuC+193], 16, 1              // Non-Nan case: store lsb of bf16
v_add3_u32 v6, v[vgprValuC+193], v6, v9            // Non-Nan case: add lsb and the increment for rounding
v_cndmask_b32 v[vgprValuC+193], v6, v8, s[32:33]   // 
v_lshrrev_b32 v[vgprValuC+193], 16, v[vgprValuC+193] // convert C to bf16
_buffer_store_b16 v193, v10, s[sgprSrdD:sgprSrdD+3], 0, offen, offset:256,  sc0 sc1 // store D
v_cmp_u_f32 s[32:33], v[vgprValuC+194], v[vgprValuC+194] // check Nan
v_bfe_u32 v6, v[vgprValuC+194], 16, 1              // Non-Nan case: store lsb of bf16
v_add3_u32 v6, v[vgprValuC+194], v6, v9            // Non-Nan case: add lsb and the increment for rounding
v_cndmask_b32 v[vgprValuC+194], v6, v8, s[32:33]   // 
v_lshrrev_b32 v[vgprValuC+194], 16, v[vgprValuC+194] // convert C to bf16
_buffer_store_b16 v194, v10, s[sgprSrdD:sgprSrdD+3], 0, offen, offset:320,  sc0 sc1 // store D
v_cmp_u_f32 s[32:33], v[vgprValuC+195], v[vgprValuC+195] // check Nan
v_bfe_u32 v6, v[vgprValuC+195], 16, 1              // Non-Nan case: store lsb of bf16
v_add3_u32 v6, v[vgprValuC+195], v6, v9            // Non-Nan case: add lsb and the increment for rounding
v_cndmask_b32 v[vgprValuC+195], v6, v8, s[32:33]   // 
v_lshrrev_b32 v[vgprValuC+195], 16, v[vgprValuC+195] // convert C to bf16
s_lshl_b32  s32, s[sgprStrideD1J], 1               // incToNextRow: Scale by BPE
	;; [unrolled: 39-line block ×3, first 2 shown]
s_add_u32  s[sgprSrdD+0], s[sgprSrdD+0], s32       // incToNextRow: gra SRD += inc(lower)
s_addc_u32  s[sgprSrdD+1], s[sgprSrdD+1], 0        // incToNextRow: gra SRD += inc(upper)
_buffer_store_b16 v201, v10, s[sgprSrdD:sgprSrdD+3], 0, offen, offset:0,  sc0 sc1 // store D
v_cmp_u_f32 s[32:33], v[vgprValuC+202], v[vgprValuC+202] // check Nan
v_bfe_u32 v6, v[vgprValuC+202], 16, 1              // Non-Nan case: store lsb of bf16
v_add3_u32 v6, v[vgprValuC+202], v6, v9            // Non-Nan case: add lsb and the increment for rounding
v_cndmask_b32 v[vgprValuC+202], v6, v8, s[32:33]   // 
v_lshrrev_b32 v[vgprValuC+202], 16, v[vgprValuC+202] // convert C to bf16
_buffer_store_b16 v202, v10, s[sgprSrdD:sgprSrdD+3], 0, offen, offset:64,  sc0 sc1 // store D
v_cmp_u_f32 s[32:33], v[vgprValuC+203], v[vgprValuC+203] // check Nan
v_bfe_u32 v6, v[vgprValuC+203], 16, 1              // Non-Nan case: store lsb of bf16
v_add3_u32 v6, v[vgprValuC+203], v6, v9            // Non-Nan case: add lsb and the increment for rounding
v_cndmask_b32 v[vgprValuC+203], v6, v8, s[32:33]   // 
v_lshrrev_b32 v[vgprValuC+203], 16, v[vgprValuC+203] // convert C to bf16
	;; [unrolled: 6-line block ×5, first 2 shown]
_buffer_store_b16 v206, v10, s[sgprSrdD:sgprSrdD+3], 0, offen, offset:320,  sc0 sc1 // store D
s_nop 0                                            // 1 wait state required when next inst writes vgprs held by previous dwordx4 store inst
s_branch label_GW_End_44                           // jump to end
GW_B0_E1_36:

/* edge=1, allocate 6 sgpr. perBatchTmpS=4 perBatchMaskS=2 perElementMaskS=0 elementsPerBatch=120 */
/* optSingleColVgpr=0 optSharedColVgpr=0 optSGPRUsage=BufferLoad_Edge_Mask optSrdIncForRow=0 */
s_sleep 5 // optimization: sync and wait
s_barrier

/******************************************/
/* Global Write Alpha Edge Batch #0 (d1,d0,vc1,vc0) = */
/*    (0,0,0,0:vw1); (0,1,0,0:vw1); (0,2,0,0:vw1); (0,3,0,0:vw1); (0,4,0,0:vw1); (0,5,0,0:vw1); (0,0,1,0:vw1); (0,1,1,0:vw1); (0,2,1,0:vw1); (0,3,1,0:vw1); (0,4,1,0:vw1); (0,5,1,0:vw1); (0,0,2,0:vw1); (0,1,2,0:vw1); (0,2,2,0:vw1); (0,3,2,0:vw1); (0,4,2,0:vw1); (0,5,2,0:vw1); (0,0,3,0:vw1); (0,1,3,0:vw1); (0,2,3,0:vw1); (0,3,3,0:vw1); (0,4,3,0:vw1); (0,5,3,0:vw1); (1,0,0,0:vw1); (1,1,0,0:vw1); (1,2,0,0:vw1); (1,3,0,0:vw1); (1,4,0,0:vw1); (1,5,0,0:vw1); (1,0,1,0:vw1); (1,1,1,0:vw1); (1,2,1,0:vw1); (1,3,1,0:vw1); (1,4,1,0:vw1); (1,5,1,0:vw1); (1,0,2,0:vw1); (1,1,2,0:vw1); (1,2,2,0:vw1); (1,3,2,0:vw1); (1,4,2,0:vw1); (1,5,2,0:vw1); (1,0,3,0:vw1); (1,1,3,0:vw1); (1,2,3,0:vw1); (1,3,3,0:vw1); (1,4,3,0:vw1); (1,5,3,0:vw1); (2,0,0,0:vw1); (2,1,0,0:vw1); (2,2,0,0:vw1); (2,3,0,0:vw1); (2,4,0,0:vw1); (2,5,0,0:vw1); (2,0,1,0:vw1); (2,1,1,0:vw1); (2,2,1,0:vw1); (2,3,1,0:vw1); (2,4,1,0:vw1); (2,5,1,0:vw1); (2,0,2,0:vw1); (2,1,2,0:vw1); (2,2,2,0:vw1); (2,3,2,0:vw1); (2,4,2,0:vw1); (2,5,2,0:vw1); (2,0,3,0:vw1); (2,1,3,0:vw1); (2,2,3,0:vw1); (2,3,3,0:vw1); (2,4,3,0:vw1); (2,5,3,0:vw1); (3,0,0,0:vw1); (3,1,0,0:vw1); (3,2,0,0:vw1); (3,3,0,0:vw1); (3,4,0,0:vw1); (3,5,0,0:vw1); (3,0,1,0:vw1); (3,1,1,0:vw1); (3,2,1,0:vw1); (3,3,1,0:vw1); (3,4,1,0:vw1); (3,5,1,0:vw1); (3,0,2,0:vw1); (3,1,2,0:vw1); (3,2,2,0:vw1); (3,3,2,0:vw1); (3,4,2,0:vw1); (3,5,2,0:vw1); (3,0,3,0:vw1); (3,1,3,0:vw1); (3,2,3,0:vw1); (3,3,3,0:vw1); (3,4,3,0:vw1); (3,5,3,0:vw1); (4,0,0,0:vw1); (4,1,0,0:vw1); (4,2,0,0:vw1); (4,3,0,0:vw1); (4,4,0,0:vw1); (4,5,0,0:vw1); (4,0,1,0:vw1); (4,1,1,0:vw1); (4,2,1,0:vw1); (4,3,1,0:vw1); (4,4,1,0:vw1); (4,5,1,0:vw1); (4,0,2,0:vw1); (4,1,2,0:vw1); (4,2,2,0:vw1); (4,3,2,0:vw1); (4,4,2,0:vw1); (4,5,2,0:vw1); (4,0,3,0:vw1); (4,1,3,0:vw1); (4,2,3,0:vw1); (4,3,3,0:vw1); (4,4,3,0:vw1); (4,5,3,0:vw1) */
/******************************************/

/* calc coords, apply mask, and issue loads (if necessary) */
/* (d1,vc1,d0,vc0)=(0,0,0,0) */
v_cmp_lt_u32 s[52:53], v0, s[sgprSizeI]            // coord0 < size0
v_cmp_lt_u32 s[56:57], v1, s[sgprSizeJ]            // coord1 < size1
s_and_b64 s[56:57], s[52:53], s[56:57]             // in0 && in1
_v_add_lshl_u32 v10, v3, v0, 0x1                   // scaleToBpe: accumulate d0 lower and *= bpe into Cin addr
v_cndmask_b32 v10, -1, v10, s[56:57]               // LDD clip if OOB. offset
/* (d1,vc1,d0,vc0)=(0,0,1,0) */
_v_add_co_u32 v4, vcc, v0, 32                      // coord0.1: coord0 += d0*sg0*VW + vc0
v_cmp_lt_u32 s[52:53], v4, s[sgprSizeI]            // coord0 < size0
v_cmp_lt_u32 s[56:57], v1, s[sgprSizeJ]            // coord1 < size1
s_and_b64 s[56:57], s[52:53], s[56:57]             // in0 && in1
_v_add_lshl_u32 v12, v3, v4, 0x1                   // scaleToBpe: accumulate d0 lower and *= bpe into Cin addr
v_cndmask_b32 v12, -1, v12, s[56:57]               // LDD clip if OOB. offset
/* (d1,vc1,d0,vc0)=(0,0,2,0) */
_v_add_co_u32 v4, vcc, v0, 64                      // coord0.1: coord0 += d0*sg0*VW + vc0
v_cmp_lt_u32 s[52:53], v4, s[sgprSizeI]            // coord0 < size0
v_cmp_lt_u32 s[56:57], v1, s[sgprSizeJ]            // coord1 < size1
s_and_b64 s[56:57], s[52:53], s[56:57]             // in0 && in1
_v_add_lshl_u32 v14, v3, v4, 0x1                   // scaleToBpe: accumulate d0 lower and *= bpe into Cin addr
v_cndmask_b32 v14, -1, v14, s[56:57]               // LDD clip if OOB. offset
/* (d1,vc1,d0,vc0)=(0,0,3,0) */
s_mov_b32 s52, 96                                  // coordOffset0 d0=3 vc0=0
_v_add_co_u32 v4, vcc, v0, s52                     // coord0.2: coord0 += d0*sg0*VW + vc0
v_cmp_lt_u32 s[52:53], v4, s[sgprSizeI]            // coord0 < size0
v_cmp_lt_u32 s[56:57], v1, s[sgprSizeJ]            // coord1 < size1
s_and_b64 s[56:57], s[52:53], s[56:57]             // in0 && in1
_v_add_lshl_u32 v16, v3, v4, 0x1                   // scaleToBpe: accumulate d0 lower and *= bpe into Cin addr
v_cndmask_b32 v16, -1, v16, s[56:57]               // LDD clip if OOB. offset
/* (d1,vc1,d0,vc0)=(0,0,4,0) */
s_mov_b32 s52, 128                                 // coordOffset0 d0=4 vc0=0
_v_add_co_u32 v4, vcc, v0, s52                     // coord0.2: coord0 += d0*sg0*VW + vc0
v_cmp_lt_u32 s[52:53], v4, s[sgprSizeI]            // coord0 < size0
v_cmp_lt_u32 s[56:57], v1, s[sgprSizeJ]            // coord1 < size1
s_and_b64 s[56:57], s[52:53], s[56:57]             // in0 && in1
_v_add_lshl_u32 v18, v3, v4, 0x1                   // scaleToBpe: accumulate d0 lower and *= bpe into Cin addr
v_cndmask_b32 v18, -1, v18, s[56:57]               // LDD clip if OOB. offset
/* (d1,vc1,d0,vc0)=(0,0,5,0) */
s_mov_b32 s52, 160                                 // coordOffset0 d0=5 vc0=0
_v_add_co_u32 v4, vcc, v0, s52                     // coord0.2: coord0 += d0*sg0*VW + vc0
v_cmp_lt_u32 s[52:53], v4, s[sgprSizeI]            // coord0 < size0
v_cmp_lt_u32 s[56:57], v1, s[sgprSizeJ]            // coord1 < size1
s_and_b64 s[56:57], s[52:53], s[56:57]             // in0 && in1
_v_add_lshl_u32 v20, v3, v4, 0x1                   // scaleToBpe: accumulate d0 lower and *= bpe into Cin addr
v_cndmask_b32 v20, -1, v20, s[56:57]               // LDD clip if OOB. offset
/* (d1,vc1,d0,vc0)=(0,1,0,0) */
_v_add_co_u32 v1, vcc, v1, 1                       // coord1.1: coord1Vgpr += d1*sg1*VW + vc1

/* Fix for UseInitialStridesCD, emitAddressSetupCode */
_v_add_u32 v2, v2, s[sgprStrideC1J]                // ROWINC- Move cinRowPtr to next row
_v_add_u32 v3, v3, s[sgprStrideD1J]                // Move coutRowPtr to next row
v_cmp_lt_u32 s[52:53], v0, s[sgprSizeI]            // coord0 < size0
v_cmp_lt_u32 s[56:57], v1, s[sgprSizeJ]            // coord1 < size1
s_and_b64 s[56:57], s[52:53], s[56:57]             // in0 && in1
_v_add_lshl_u32 v22, v3, v0, 0x1                   // scaleToBpe: accumulate d0 lower and *= bpe into Cin addr
v_cndmask_b32 v22, -1, v22, s[56:57]               // LDD clip if OOB. offset
/* (d1,vc1,d0,vc0)=(0,1,1,0) */
_v_add_co_u32 v4, vcc, v0, 32                      // coord0.1: coord0 += d0*sg0*VW + vc0
v_cmp_lt_u32 s[52:53], v4, s[sgprSizeI]            // coord0 < size0
v_cmp_lt_u32 s[56:57], v1, s[sgprSizeJ]            // coord1 < size1
s_and_b64 s[56:57], s[52:53], s[56:57]             // in0 && in1
_v_add_lshl_u32 v24, v3, v4, 0x1                   // scaleToBpe: accumulate d0 lower and *= bpe into Cin addr
v_cndmask_b32 v24, -1, v24, s[56:57]               // LDD clip if OOB. offset
/* (d1,vc1,d0,vc0)=(0,1,2,0) */
_v_add_co_u32 v4, vcc, v0, 64                      // coord0.1: coord0 += d0*sg0*VW + vc0
v_cmp_lt_u32 s[52:53], v4, s[sgprSizeI]            // coord0 < size0
v_cmp_lt_u32 s[56:57], v1, s[sgprSizeJ]            // coord1 < size1
s_and_b64 s[56:57], s[52:53], s[56:57]             // in0 && in1
_v_add_lshl_u32 v26, v3, v4, 0x1                   // scaleToBpe: accumulate d0 lower and *= bpe into Cin addr
v_cndmask_b32 v26, -1, v26, s[56:57]               // LDD clip if OOB. offset
/* (d1,vc1,d0,vc0)=(0,1,3,0) */
s_mov_b32 s52, 96                                  // coordOffset0 d0=3 vc0=0
_v_add_co_u32 v4, vcc, v0, s52                     // coord0.2: coord0 += d0*sg0*VW + vc0
v_cmp_lt_u32 s[52:53], v4, s[sgprSizeI]            // coord0 < size0
v_cmp_lt_u32 s[56:57], v1, s[sgprSizeJ]            // coord1 < size1
s_and_b64 s[56:57], s[52:53], s[56:57]             // in0 && in1
_v_add_lshl_u32 v28, v3, v4, 0x1                   // scaleToBpe: accumulate d0 lower and *= bpe into Cin addr
v_cndmask_b32 v28, -1, v28, s[56:57]               // LDD clip if OOB. offset
/* (d1,vc1,d0,vc0)=(0,1,4,0) */
s_mov_b32 s52, 128                                 // coordOffset0 d0=4 vc0=0
_v_add_co_u32 v4, vcc, v0, s52                     // coord0.2: coord0 += d0*sg0*VW + vc0
v_cmp_lt_u32 s[52:53], v4, s[sgprSizeI]            // coord0 < size0
v_cmp_lt_u32 s[56:57], v1, s[sgprSizeJ]            // coord1 < size1
s_and_b64 s[56:57], s[52:53], s[56:57]             // in0 && in1
_v_add_lshl_u32 v30, v3, v4, 0x1                   // scaleToBpe: accumulate d0 lower and *= bpe into Cin addr
v_cndmask_b32 v30, -1, v30, s[56:57]               // LDD clip if OOB. offset
/* (d1,vc1,d0,vc0)=(0,1,5,0) */
s_mov_b32 s52, 160                                 // coordOffset0 d0=5 vc0=0
_v_add_co_u32 v4, vcc, v0, s52                     // coord0.2: coord0 += d0*sg0*VW + vc0
v_cmp_lt_u32 s[52:53], v4, s[sgprSizeI]            // coord0 < size0
v_cmp_lt_u32 s[56:57], v1, s[sgprSizeJ]            // coord1 < size1
s_and_b64 s[56:57], s[52:53], s[56:57]             // in0 && in1
_v_add_lshl_u32 v32, v3, v4, 0x1                   // scaleToBpe: accumulate d0 lower and *= bpe into Cin addr
v_cndmask_b32 v32, -1, v32, s[56:57]               // LDD clip if OOB. offset
/* (d1,vc1,d0,vc0)=(0,2,0,0) */
_v_add_co_u32 v1, vcc, v1, 1                       // coord1.1: coord1Vgpr += d1*sg1*VW + vc1

/* Fix for UseInitialStridesCD, emitAddressSetupCode */
_v_add_u32 v2, v2, s[sgprStrideC1J]                // ROWINC- Move cinRowPtr to next row
_v_add_u32 v3, v3, s[sgprStrideD1J]                // Move coutRowPtr to next row
	;; [unrolled: 49-line block ×3, first 2 shown]
v_cmp_lt_u32 s[52:53], v0, s[sgprSizeI]            // coord0 < size0
v_cmp_lt_u32 s[56:57], v1, s[sgprSizeJ]            // coord1 < size1
s_and_b64 s[56:57], s[52:53], s[56:57]             // in0 && in1
_v_add_lshl_u32 v46, v3, v0, 0x1                   // scaleToBpe: accumulate d0 lower and *= bpe into Cin addr
v_cndmask_b32 v46, -1, v46, s[56:57]               // LDD clip if OOB. offset
/* (d1,vc1,d0,vc0)=(0,3,1,0) */
_v_add_co_u32 v4, vcc, v0, 32                      // coord0.1: coord0 += d0*sg0*VW + vc0
v_cmp_lt_u32 s[52:53], v4, s[sgprSizeI]            // coord0 < size0
v_cmp_lt_u32 s[56:57], v1, s[sgprSizeJ]            // coord1 < size1
s_and_b64 s[56:57], s[52:53], s[56:57]             // in0 && in1
_v_add_lshl_u32 v48, v3, v4, 0x1                   // scaleToBpe: accumulate d0 lower and *= bpe into Cin addr
v_cndmask_b32 v48, -1, v48, s[56:57]               // LDD clip if OOB. offset
/* (d1,vc1,d0,vc0)=(0,3,2,0) */
_v_add_co_u32 v4, vcc, v0, 64                      // coord0.1: coord0 += d0*sg0*VW + vc0
v_cmp_lt_u32 s[52:53], v4, s[sgprSizeI]            // coord0 < size0
v_cmp_lt_u32 s[56:57], v1, s[sgprSizeJ]            // coord1 < size1
s_and_b64 s[56:57], s[52:53], s[56:57]             // in0 && in1
_v_add_lshl_u32 v50, v3, v4, 0x1                   // scaleToBpe: accumulate d0 lower and *= bpe into Cin addr
v_cndmask_b32 v50, -1, v50, s[56:57]               // LDD clip if OOB. offset
/* (d1,vc1,d0,vc0)=(0,3,3,0) */
s_mov_b32 s52, 96                                  // coordOffset0 d0=3 vc0=0
_v_add_co_u32 v4, vcc, v0, s52                     // coord0.2: coord0 += d0*sg0*VW + vc0
v_cmp_lt_u32 s[52:53], v4, s[sgprSizeI]            // coord0 < size0
v_cmp_lt_u32 s[56:57], v1, s[sgprSizeJ]            // coord1 < size1
s_and_b64 s[56:57], s[52:53], s[56:57]             // in0 && in1
_v_add_lshl_u32 v52, v3, v4, 0x1                   // scaleToBpe: accumulate d0 lower and *= bpe into Cin addr
v_cndmask_b32 v52, -1, v52, s[56:57]               // LDD clip if OOB. offset
/* (d1,vc1,d0,vc0)=(0,3,4,0) */
s_mov_b32 s52, 128                                 // coordOffset0 d0=4 vc0=0
_v_add_co_u32 v4, vcc, v0, s52                     // coord0.2: coord0 += d0*sg0*VW + vc0
v_cmp_lt_u32 s[52:53], v4, s[sgprSizeI]            // coord0 < size0
v_cmp_lt_u32 s[56:57], v1, s[sgprSizeJ]            // coord1 < size1
s_and_b64 s[56:57], s[52:53], s[56:57]             // in0 && in1
_v_add_lshl_u32 v54, v3, v4, 0x1                   // scaleToBpe: accumulate d0 lower and *= bpe into Cin addr
v_cndmask_b32 v54, -1, v54, s[56:57]               // LDD clip if OOB. offset
/* (d1,vc1,d0,vc0)=(0,3,5,0) */
s_mov_b32 s52, 160                                 // coordOffset0 d0=5 vc0=0
_v_add_co_u32 v4, vcc, v0, s52                     // coord0.2: coord0 += d0*sg0*VW + vc0
v_cmp_lt_u32 s[52:53], v4, s[sgprSizeI]            // coord0 < size0
v_cmp_lt_u32 s[56:57], v1, s[sgprSizeJ]            // coord1 < size1
s_and_b64 s[56:57], s[52:53], s[56:57]             // in0 && in1
_v_add_lshl_u32 v56, v3, v4, 0x1                   // scaleToBpe: accumulate d0 lower and *= bpe into Cin addr
v_cndmask_b32 v56, -1, v56, s[56:57]               // LDD clip if OOB. offset
/* (d1,vc1,d0,vc0)=(1,0,0,0) */
_v_add_co_u32 v1, vcc, v1, 29                      // coord1.1: coord1Vgpr += d1*sg1*VW + vc1

/* Fix for UseInitialStridesCD, emitAddressSetupCode */
s_mul_i32 s52, s[sgprStrideC1J], 29                // scale stride
_v_add_u32 v2, v2, s52                             // ROWINC- Move cinRowPtr to next row
s_mul_i32 s52, s[sgprStrideD1J], 29                // scale stride
_v_add_u32 v3, v3, s52                             // Move coutRowPtr to next row
v_cmp_lt_u32 s[52:53], v0, s[sgprSizeI]            // coord0 < size0
v_cmp_lt_u32 s[56:57], v1, s[sgprSizeJ]            // coord1 < size1
s_and_b64 s[56:57], s[52:53], s[56:57]             // in0 && in1
_v_add_lshl_u32 v58, v3, v0, 0x1                   // scaleToBpe: accumulate d0 lower and *= bpe into Cin addr
v_cndmask_b32 v58, -1, v58, s[56:57]               // LDD clip if OOB. offset
/* (d1,vc1,d0,vc0)=(1,0,1,0) */
_v_add_co_u32 v4, vcc, v0, 32                      // coord0.1: coord0 += d0*sg0*VW + vc0
v_cmp_lt_u32 s[52:53], v4, s[sgprSizeI]            // coord0 < size0
v_cmp_lt_u32 s[56:57], v1, s[sgprSizeJ]            // coord1 < size1
s_and_b64 s[56:57], s[52:53], s[56:57]             // in0 && in1
_v_add_lshl_u32 v60, v3, v4, 0x1                   // scaleToBpe: accumulate d0 lower and *= bpe into Cin addr
v_cndmask_b32 v60, -1, v60, s[56:57]               // LDD clip if OOB. offset
/* (d1,vc1,d0,vc0)=(1,0,2,0) */
_v_add_co_u32 v4, vcc, v0, 64                      // coord0.1: coord0 += d0*sg0*VW + vc0
v_cmp_lt_u32 s[52:53], v4, s[sgprSizeI]            // coord0 < size0
v_cmp_lt_u32 s[56:57], v1, s[sgprSizeJ]            // coord1 < size1
s_and_b64 s[56:57], s[52:53], s[56:57]             // in0 && in1
_v_add_lshl_u32 v62, v3, v4, 0x1                   // scaleToBpe: accumulate d0 lower and *= bpe into Cin addr
v_cndmask_b32 v62, -1, v62, s[56:57]               // LDD clip if OOB. offset
/* (d1,vc1,d0,vc0)=(1,0,3,0) */
s_mov_b32 s52, 96                                  // coordOffset0 d0=3 vc0=0
_v_add_co_u32 v4, vcc, v0, s52                     // coord0.2: coord0 += d0*sg0*VW + vc0
v_cmp_lt_u32 s[52:53], v4, s[sgprSizeI]            // coord0 < size0
v_cmp_lt_u32 s[56:57], v1, s[sgprSizeJ]            // coord1 < size1
s_and_b64 s[56:57], s[52:53], s[56:57]             // in0 && in1
_v_add_lshl_u32 v64, v3, v4, 0x1                   // scaleToBpe: accumulate d0 lower and *= bpe into Cin addr
v_cndmask_b32 v64, -1, v64, s[56:57]               // LDD clip if OOB. offset
/* (d1,vc1,d0,vc0)=(1,0,4,0) */
s_mov_b32 s52, 128                                 // coordOffset0 d0=4 vc0=0
_v_add_co_u32 v4, vcc, v0, s52                     // coord0.2: coord0 += d0*sg0*VW + vc0
v_cmp_lt_u32 s[52:53], v4, s[sgprSizeI]            // coord0 < size0
v_cmp_lt_u32 s[56:57], v1, s[sgprSizeJ]            // coord1 < size1
s_and_b64 s[56:57], s[52:53], s[56:57]             // in0 && in1
_v_add_lshl_u32 v66, v3, v4, 0x1                   // scaleToBpe: accumulate d0 lower and *= bpe into Cin addr
v_cndmask_b32 v66, -1, v66, s[56:57]               // LDD clip if OOB. offset
/* (d1,vc1,d0,vc0)=(1,0,5,0) */
s_mov_b32 s52, 160                                 // coordOffset0 d0=5 vc0=0
_v_add_co_u32 v4, vcc, v0, s52                     // coord0.2: coord0 += d0*sg0*VW + vc0
v_cmp_lt_u32 s[52:53], v4, s[sgprSizeI]            // coord0 < size0
v_cmp_lt_u32 s[56:57], v1, s[sgprSizeJ]            // coord1 < size1
s_and_b64 s[56:57], s[52:53], s[56:57]             // in0 && in1
_v_add_lshl_u32 v68, v3, v4, 0x1                   // scaleToBpe: accumulate d0 lower and *= bpe into Cin addr
v_cndmask_b32 v68, -1, v68, s[56:57]               // LDD clip if OOB. offset
/* (d1,vc1,d0,vc0)=(1,1,0,0) */
_v_add_co_u32 v1, vcc, v1, 1                       // coord1.1: coord1Vgpr += d1*sg1*VW + vc1

/* Fix for UseInitialStridesCD, emitAddressSetupCode */
_v_add_u32 v2, v2, s[sgprStrideC1J]                // ROWINC- Move cinRowPtr to next row
_v_add_u32 v3, v3, s[sgprStrideD1J]                // Move coutRowPtr to next row
v_cmp_lt_u32 s[52:53], v0, s[sgprSizeI]            // coord0 < size0
v_cmp_lt_u32 s[56:57], v1, s[sgprSizeJ]            // coord1 < size1
s_and_b64 s[56:57], s[52:53], s[56:57]             // in0 && in1
_v_add_lshl_u32 v70, v3, v0, 0x1                   // scaleToBpe: accumulate d0 lower and *= bpe into Cin addr
v_cndmask_b32 v70, -1, v70, s[56:57]               // LDD clip if OOB. offset
/* (d1,vc1,d0,vc0)=(1,1,1,0) */
_v_add_co_u32 v4, vcc, v0, 32                      // coord0.1: coord0 += d0*sg0*VW + vc0
v_cmp_lt_u32 s[52:53], v4, s[sgprSizeI]            // coord0 < size0
v_cmp_lt_u32 s[56:57], v1, s[sgprSizeJ]            // coord1 < size1
s_and_b64 s[56:57], s[52:53], s[56:57]             // in0 && in1
_v_add_lshl_u32 v72, v3, v4, 0x1                   // scaleToBpe: accumulate d0 lower and *= bpe into Cin addr
v_cndmask_b32 v72, -1, v72, s[56:57]               // LDD clip if OOB. offset
/* (d1,vc1,d0,vc0)=(1,1,2,0) */
_v_add_co_u32 v4, vcc, v0, 64                      // coord0.1: coord0 += d0*sg0*VW + vc0
v_cmp_lt_u32 s[52:53], v4, s[sgprSizeI]            // coord0 < size0
v_cmp_lt_u32 s[56:57], v1, s[sgprSizeJ]            // coord1 < size1
s_and_b64 s[56:57], s[52:53], s[56:57]             // in0 && in1
_v_add_lshl_u32 v74, v3, v4, 0x1                   // scaleToBpe: accumulate d0 lower and *= bpe into Cin addr
v_cndmask_b32 v74, -1, v74, s[56:57]               // LDD clip if OOB. offset
/* (d1,vc1,d0,vc0)=(1,1,3,0) */
s_mov_b32 s52, 96                                  // coordOffset0 d0=3 vc0=0
_v_add_co_u32 v4, vcc, v0, s52                     // coord0.2: coord0 += d0*sg0*VW + vc0
v_cmp_lt_u32 s[52:53], v4, s[sgprSizeI]            // coord0 < size0
v_cmp_lt_u32 s[56:57], v1, s[sgprSizeJ]            // coord1 < size1
s_and_b64 s[56:57], s[52:53], s[56:57]             // in0 && in1
_v_add_lshl_u32 v76, v3, v4, 0x1                   // scaleToBpe: accumulate d0 lower and *= bpe into Cin addr
v_cndmask_b32 v76, -1, v76, s[56:57]               // LDD clip if OOB. offset
/* (d1,vc1,d0,vc0)=(1,1,4,0) */
s_mov_b32 s52, 128                                 // coordOffset0 d0=4 vc0=0
_v_add_co_u32 v4, vcc, v0, s52                     // coord0.2: coord0 += d0*sg0*VW + vc0
v_cmp_lt_u32 s[52:53], v4, s[sgprSizeI]            // coord0 < size0
v_cmp_lt_u32 s[56:57], v1, s[sgprSizeJ]            // coord1 < size1
s_and_b64 s[56:57], s[52:53], s[56:57]             // in0 && in1
_v_add_lshl_u32 v78, v3, v4, 0x1                   // scaleToBpe: accumulate d0 lower and *= bpe into Cin addr
v_cndmask_b32 v78, -1, v78, s[56:57]               // LDD clip if OOB. offset
/* (d1,vc1,d0,vc0)=(1,1,5,0) */
s_mov_b32 s52, 160                                 // coordOffset0 d0=5 vc0=0
_v_add_co_u32 v4, vcc, v0, s52                     // coord0.2: coord0 += d0*sg0*VW + vc0
v_cmp_lt_u32 s[52:53], v4, s[sgprSizeI]            // coord0 < size0
v_cmp_lt_u32 s[56:57], v1, s[sgprSizeJ]            // coord1 < size1
s_and_b64 s[56:57], s[52:53], s[56:57]             // in0 && in1
_v_add_lshl_u32 v80, v3, v4, 0x1                   // scaleToBpe: accumulate d0 lower and *= bpe into Cin addr
v_cndmask_b32 v80, -1, v80, s[56:57]               // LDD clip if OOB. offset
/* (d1,vc1,d0,vc0)=(1,2,0,0) */
_v_add_co_u32 v1, vcc, v1, 1                       // coord1.1: coord1Vgpr += d1*sg1*VW + vc1

/* Fix for UseInitialStridesCD, emitAddressSetupCode */
_v_add_u32 v2, v2, s[sgprStrideC1J]                // ROWINC- Move cinRowPtr to next row
_v_add_u32 v3, v3, s[sgprStrideD1J]                // Move coutRowPtr to next row
	;; [unrolled: 49-line block ×3, first 2 shown]
v_cmp_lt_u32 s[52:53], v0, s[sgprSizeI]            // coord0 < size0
v_cmp_lt_u32 s[56:57], v1, s[sgprSizeJ]            // coord1 < size1
s_and_b64 s[56:57], s[52:53], s[56:57]             // in0 && in1
_v_add_lshl_u32 v94, v3, v0, 0x1                   // scaleToBpe: accumulate d0 lower and *= bpe into Cin addr
v_cndmask_b32 v94, -1, v94, s[56:57]               // LDD clip if OOB. offset
/* (d1,vc1,d0,vc0)=(1,3,1,0) */
_v_add_co_u32 v4, vcc, v0, 32                      // coord0.1: coord0 += d0*sg0*VW + vc0
v_cmp_lt_u32 s[52:53], v4, s[sgprSizeI]            // coord0 < size0
v_cmp_lt_u32 s[56:57], v1, s[sgprSizeJ]            // coord1 < size1
s_and_b64 s[56:57], s[52:53], s[56:57]             // in0 && in1
_v_add_lshl_u32 v96, v3, v4, 0x1                   // scaleToBpe: accumulate d0 lower and *= bpe into Cin addr
v_cndmask_b32 v96, -1, v96, s[56:57]               // LDD clip if OOB. offset
/* (d1,vc1,d0,vc0)=(1,3,2,0) */
_v_add_co_u32 v4, vcc, v0, 64                      // coord0.1: coord0 += d0*sg0*VW + vc0
v_cmp_lt_u32 s[52:53], v4, s[sgprSizeI]            // coord0 < size0
v_cmp_lt_u32 s[56:57], v1, s[sgprSizeJ]            // coord1 < size1
s_and_b64 s[56:57], s[52:53], s[56:57]             // in0 && in1
_v_add_lshl_u32 v98, v3, v4, 0x1                   // scaleToBpe: accumulate d0 lower and *= bpe into Cin addr
v_cndmask_b32 v98, -1, v98, s[56:57]               // LDD clip if OOB. offset
/* (d1,vc1,d0,vc0)=(1,3,3,0) */
s_mov_b32 s52, 96                                  // coordOffset0 d0=3 vc0=0
_v_add_co_u32 v4, vcc, v0, s52                     // coord0.2: coord0 += d0*sg0*VW + vc0
v_cmp_lt_u32 s[52:53], v4, s[sgprSizeI]            // coord0 < size0
v_cmp_lt_u32 s[56:57], v1, s[sgprSizeJ]            // coord1 < size1
s_and_b64 s[56:57], s[52:53], s[56:57]             // in0 && in1
_v_add_lshl_u32 v100, v3, v4, 0x1                  // scaleToBpe: accumulate d0 lower and *= bpe into Cin addr
v_cndmask_b32 v100, -1, v100, s[56:57]             // LDD clip if OOB. offset
/* (d1,vc1,d0,vc0)=(1,3,4,0) */
s_mov_b32 s52, 128                                 // coordOffset0 d0=4 vc0=0
_v_add_co_u32 v4, vcc, v0, s52                     // coord0.2: coord0 += d0*sg0*VW + vc0
v_cmp_lt_u32 s[52:53], v4, s[sgprSizeI]            // coord0 < size0
v_cmp_lt_u32 s[56:57], v1, s[sgprSizeJ]            // coord1 < size1
s_and_b64 s[56:57], s[52:53], s[56:57]             // in0 && in1
_v_add_lshl_u32 v102, v3, v4, 0x1                  // scaleToBpe: accumulate d0 lower and *= bpe into Cin addr
v_cndmask_b32 v102, -1, v102, s[56:57]             // LDD clip if OOB. offset
/* (d1,vc1,d0,vc0)=(1,3,5,0) */
s_mov_b32 s52, 160                                 // coordOffset0 d0=5 vc0=0
_v_add_co_u32 v4, vcc, v0, s52                     // coord0.2: coord0 += d0*sg0*VW + vc0
v_cmp_lt_u32 s[52:53], v4, s[sgprSizeI]            // coord0 < size0
v_cmp_lt_u32 s[56:57], v1, s[sgprSizeJ]            // coord1 < size1
s_and_b64 s[56:57], s[52:53], s[56:57]             // in0 && in1
_v_add_lshl_u32 v104, v3, v4, 0x1                  // scaleToBpe: accumulate d0 lower and *= bpe into Cin addr
v_cndmask_b32 v104, -1, v104, s[56:57]             // LDD clip if OOB. offset
/* (d1,vc1,d0,vc0)=(2,0,0,0) */
_v_add_co_u32 v1, vcc, v1, 29                      // coord1.1: coord1Vgpr += d1*sg1*VW + vc1

/* Fix for UseInitialStridesCD, emitAddressSetupCode */
s_mul_i32 s52, s[sgprStrideC1J], 29                // scale stride
_v_add_u32 v2, v2, s52                             // ROWINC- Move cinRowPtr to next row
s_mul_i32 s52, s[sgprStrideD1J], 29                // scale stride
_v_add_u32 v3, v3, s52                             // Move coutRowPtr to next row
v_cmp_lt_u32 s[52:53], v0, s[sgprSizeI]            // coord0 < size0
v_cmp_lt_u32 s[56:57], v1, s[sgprSizeJ]            // coord1 < size1
s_and_b64 s[56:57], s[52:53], s[56:57]             // in0 && in1
_v_add_lshl_u32 v106, v3, v0, 0x1                  // scaleToBpe: accumulate d0 lower and *= bpe into Cin addr
v_cndmask_b32 v106, -1, v106, s[56:57]             // LDD clip if OOB. offset
/* (d1,vc1,d0,vc0)=(2,0,1,0) */
_v_add_co_u32 v4, vcc, v0, 32                      // coord0.1: coord0 += d0*sg0*VW + vc0
v_cmp_lt_u32 s[52:53], v4, s[sgprSizeI]            // coord0 < size0
v_cmp_lt_u32 s[56:57], v1, s[sgprSizeJ]            // coord1 < size1
s_and_b64 s[56:57], s[52:53], s[56:57]             // in0 && in1
_v_add_lshl_u32 v108, v3, v4, 0x1                  // scaleToBpe: accumulate d0 lower and *= bpe into Cin addr
v_cndmask_b32 v108, -1, v108, s[56:57]             // LDD clip if OOB. offset
/* (d1,vc1,d0,vc0)=(2,0,2,0) */
_v_add_co_u32 v4, vcc, v0, 64                      // coord0.1: coord0 += d0*sg0*VW + vc0
v_cmp_lt_u32 s[52:53], v4, s[sgprSizeI]            // coord0 < size0
v_cmp_lt_u32 s[56:57], v1, s[sgprSizeJ]            // coord1 < size1
s_and_b64 s[56:57], s[52:53], s[56:57]             // in0 && in1
_v_add_lshl_u32 v110, v3, v4, 0x1                  // scaleToBpe: accumulate d0 lower and *= bpe into Cin addr
v_cndmask_b32 v110, -1, v110, s[56:57]             // LDD clip if OOB. offset
/* (d1,vc1,d0,vc0)=(2,0,3,0) */
s_mov_b32 s52, 96                                  // coordOffset0 d0=3 vc0=0
_v_add_co_u32 v4, vcc, v0, s52                     // coord0.2: coord0 += d0*sg0*VW + vc0
v_cmp_lt_u32 s[52:53], v4, s[sgprSizeI]            // coord0 < size0
v_cmp_lt_u32 s[56:57], v1, s[sgprSizeJ]            // coord1 < size1
s_and_b64 s[56:57], s[52:53], s[56:57]             // in0 && in1
_v_add_lshl_u32 v112, v3, v4, 0x1                  // scaleToBpe: accumulate d0 lower and *= bpe into Cin addr
v_cndmask_b32 v112, -1, v112, s[56:57]             // LDD clip if OOB. offset
/* (d1,vc1,d0,vc0)=(2,0,4,0) */
s_mov_b32 s52, 128                                 // coordOffset0 d0=4 vc0=0
_v_add_co_u32 v4, vcc, v0, s52                     // coord0.2: coord0 += d0*sg0*VW + vc0
v_cmp_lt_u32 s[52:53], v4, s[sgprSizeI]            // coord0 < size0
v_cmp_lt_u32 s[56:57], v1, s[sgprSizeJ]            // coord1 < size1
s_and_b64 s[56:57], s[52:53], s[56:57]             // in0 && in1
_v_add_lshl_u32 v114, v3, v4, 0x1                  // scaleToBpe: accumulate d0 lower and *= bpe into Cin addr
v_cndmask_b32 v114, -1, v114, s[56:57]             // LDD clip if OOB. offset
/* (d1,vc1,d0,vc0)=(2,0,5,0) */
s_mov_b32 s52, 160                                 // coordOffset0 d0=5 vc0=0
_v_add_co_u32 v4, vcc, v0, s52                     // coord0.2: coord0 += d0*sg0*VW + vc0
v_cmp_lt_u32 s[52:53], v4, s[sgprSizeI]            // coord0 < size0
v_cmp_lt_u32 s[56:57], v1, s[sgprSizeJ]            // coord1 < size1
s_and_b64 s[56:57], s[52:53], s[56:57]             // in0 && in1
_v_add_lshl_u32 v116, v3, v4, 0x1                  // scaleToBpe: accumulate d0 lower and *= bpe into Cin addr
v_cndmask_b32 v116, -1, v116, s[56:57]             // LDD clip if OOB. offset
/* (d1,vc1,d0,vc0)=(2,1,0,0) */
_v_add_co_u32 v1, vcc, v1, 1                       // coord1.1: coord1Vgpr += d1*sg1*VW + vc1

/* Fix for UseInitialStridesCD, emitAddressSetupCode */
_v_add_u32 v2, v2, s[sgprStrideC1J]                // ROWINC- Move cinRowPtr to next row
_v_add_u32 v3, v3, s[sgprStrideD1J]                // Move coutRowPtr to next row
v_cmp_lt_u32 s[52:53], v0, s[sgprSizeI]            // coord0 < size0
v_cmp_lt_u32 s[56:57], v1, s[sgprSizeJ]            // coord1 < size1
s_and_b64 s[56:57], s[52:53], s[56:57]             // in0 && in1
_v_add_lshl_u32 v118, v3, v0, 0x1                  // scaleToBpe: accumulate d0 lower and *= bpe into Cin addr
v_cndmask_b32 v118, -1, v118, s[56:57]             // LDD clip if OOB. offset
/* (d1,vc1,d0,vc0)=(2,1,1,0) */
_v_add_co_u32 v4, vcc, v0, 32                      // coord0.1: coord0 += d0*sg0*VW + vc0
v_cmp_lt_u32 s[52:53], v4, s[sgprSizeI]            // coord0 < size0
v_cmp_lt_u32 s[56:57], v1, s[sgprSizeJ]            // coord1 < size1
s_and_b64 s[56:57], s[52:53], s[56:57]             // in0 && in1
_v_add_lshl_u32 v120, v3, v4, 0x1                  // scaleToBpe: accumulate d0 lower and *= bpe into Cin addr
v_cndmask_b32 v120, -1, v120, s[56:57]             // LDD clip if OOB. offset
/* (d1,vc1,d0,vc0)=(2,1,2,0) */
_v_add_co_u32 v4, vcc, v0, 64                      // coord0.1: coord0 += d0*sg0*VW + vc0
v_cmp_lt_u32 s[52:53], v4, s[sgprSizeI]            // coord0 < size0
v_cmp_lt_u32 s[56:57], v1, s[sgprSizeJ]            // coord1 < size1
s_and_b64 s[56:57], s[52:53], s[56:57]             // in0 && in1
_v_add_lshl_u32 v122, v3, v4, 0x1                  // scaleToBpe: accumulate d0 lower and *= bpe into Cin addr
v_cndmask_b32 v122, -1, v122, s[56:57]             // LDD clip if OOB. offset
/* (d1,vc1,d0,vc0)=(2,1,3,0) */
s_mov_b32 s52, 96                                  // coordOffset0 d0=3 vc0=0
_v_add_co_u32 v4, vcc, v0, s52                     // coord0.2: coord0 += d0*sg0*VW + vc0
v_cmp_lt_u32 s[52:53], v4, s[sgprSizeI]            // coord0 < size0
v_cmp_lt_u32 s[56:57], v1, s[sgprSizeJ]            // coord1 < size1
s_and_b64 s[56:57], s[52:53], s[56:57]             // in0 && in1
_v_add_lshl_u32 v124, v3, v4, 0x1                  // scaleToBpe: accumulate d0 lower and *= bpe into Cin addr
v_cndmask_b32 v124, -1, v124, s[56:57]             // LDD clip if OOB. offset
/* (d1,vc1,d0,vc0)=(2,1,4,0) */
s_mov_b32 s52, 128                                 // coordOffset0 d0=4 vc0=0
_v_add_co_u32 v4, vcc, v0, s52                     // coord0.2: coord0 += d0*sg0*VW + vc0
v_cmp_lt_u32 s[52:53], v4, s[sgprSizeI]            // coord0 < size0
v_cmp_lt_u32 s[56:57], v1, s[sgprSizeJ]            // coord1 < size1
s_and_b64 s[56:57], s[52:53], s[56:57]             // in0 && in1
_v_add_lshl_u32 v126, v3, v4, 0x1                  // scaleToBpe: accumulate d0 lower and *= bpe into Cin addr
v_cndmask_b32 v126, -1, v126, s[56:57]             // LDD clip if OOB. offset
/* (d1,vc1,d0,vc0)=(2,1,5,0) */
s_mov_b32 s52, 160                                 // coordOffset0 d0=5 vc0=0
_v_add_co_u32 v4, vcc, v0, s52                     // coord0.2: coord0 += d0*sg0*VW + vc0
v_cmp_lt_u32 s[52:53], v4, s[sgprSizeI]            // coord0 < size0
v_cmp_lt_u32 s[56:57], v1, s[sgprSizeJ]            // coord1 < size1
s_and_b64 s[56:57], s[52:53], s[56:57]             // in0 && in1
_v_add_lshl_u32 v128, v3, v4, 0x1                  // scaleToBpe: accumulate d0 lower and *= bpe into Cin addr
v_cndmask_b32 v128, -1, v128, s[56:57]             // LDD clip if OOB. offset
/* (d1,vc1,d0,vc0)=(2,2,0,0) */
_v_add_co_u32 v1, vcc, v1, 1                       // coord1.1: coord1Vgpr += d1*sg1*VW + vc1

/* Fix for UseInitialStridesCD, emitAddressSetupCode */
_v_add_u32 v2, v2, s[sgprStrideC1J]                // ROWINC- Move cinRowPtr to next row
_v_add_u32 v3, v3, s[sgprStrideD1J]                // Move coutRowPtr to next row
	;; [unrolled: 49-line block ×3, first 2 shown]
v_cmp_lt_u32 s[52:53], v0, s[sgprSizeI]            // coord0 < size0
v_cmp_lt_u32 s[56:57], v1, s[sgprSizeJ]            // coord1 < size1
s_and_b64 s[56:57], s[52:53], s[56:57]             // in0 && in1
_v_add_lshl_u32 v142, v3, v0, 0x1                  // scaleToBpe: accumulate d0 lower and *= bpe into Cin addr
v_cndmask_b32 v142, -1, v142, s[56:57]             // LDD clip if OOB. offset
/* (d1,vc1,d0,vc0)=(2,3,1,0) */
_v_add_co_u32 v4, vcc, v0, 32                      // coord0.1: coord0 += d0*sg0*VW + vc0
v_cmp_lt_u32 s[52:53], v4, s[sgprSizeI]            // coord0 < size0
v_cmp_lt_u32 s[56:57], v1, s[sgprSizeJ]            // coord1 < size1
s_and_b64 s[56:57], s[52:53], s[56:57]             // in0 && in1
_v_add_lshl_u32 v144, v3, v4, 0x1                  // scaleToBpe: accumulate d0 lower and *= bpe into Cin addr
v_cndmask_b32 v144, -1, v144, s[56:57]             // LDD clip if OOB. offset
/* (d1,vc1,d0,vc0)=(2,3,2,0) */
_v_add_co_u32 v4, vcc, v0, 64                      // coord0.1: coord0 += d0*sg0*VW + vc0
v_cmp_lt_u32 s[52:53], v4, s[sgprSizeI]            // coord0 < size0
v_cmp_lt_u32 s[56:57], v1, s[sgprSizeJ]            // coord1 < size1
s_and_b64 s[56:57], s[52:53], s[56:57]             // in0 && in1
_v_add_lshl_u32 v146, v3, v4, 0x1                  // scaleToBpe: accumulate d0 lower and *= bpe into Cin addr
v_cndmask_b32 v146, -1, v146, s[56:57]             // LDD clip if OOB. offset
/* (d1,vc1,d0,vc0)=(2,3,3,0) */
s_mov_b32 s52, 96                                  // coordOffset0 d0=3 vc0=0
_v_add_co_u32 v4, vcc, v0, s52                     // coord0.2: coord0 += d0*sg0*VW + vc0
v_cmp_lt_u32 s[52:53], v4, s[sgprSizeI]            // coord0 < size0
v_cmp_lt_u32 s[56:57], v1, s[sgprSizeJ]            // coord1 < size1
s_and_b64 s[56:57], s[52:53], s[56:57]             // in0 && in1
_v_add_lshl_u32 v148, v3, v4, 0x1                  // scaleToBpe: accumulate d0 lower and *= bpe into Cin addr
v_cndmask_b32 v148, -1, v148, s[56:57]             // LDD clip if OOB. offset
/* (d1,vc1,d0,vc0)=(2,3,4,0) */
s_mov_b32 s52, 128                                 // coordOffset0 d0=4 vc0=0
_v_add_co_u32 v4, vcc, v0, s52                     // coord0.2: coord0 += d0*sg0*VW + vc0
v_cmp_lt_u32 s[52:53], v4, s[sgprSizeI]            // coord0 < size0
v_cmp_lt_u32 s[56:57], v1, s[sgprSizeJ]            // coord1 < size1
s_and_b64 s[56:57], s[52:53], s[56:57]             // in0 && in1
_v_add_lshl_u32 v150, v3, v4, 0x1                  // scaleToBpe: accumulate d0 lower and *= bpe into Cin addr
v_cndmask_b32 v150, -1, v150, s[56:57]             // LDD clip if OOB. offset
/* (d1,vc1,d0,vc0)=(2,3,5,0) */
s_mov_b32 s52, 160                                 // coordOffset0 d0=5 vc0=0
_v_add_co_u32 v4, vcc, v0, s52                     // coord0.2: coord0 += d0*sg0*VW + vc0
v_cmp_lt_u32 s[52:53], v4, s[sgprSizeI]            // coord0 < size0
v_cmp_lt_u32 s[56:57], v1, s[sgprSizeJ]            // coord1 < size1
s_and_b64 s[56:57], s[52:53], s[56:57]             // in0 && in1
_v_add_lshl_u32 v152, v3, v4, 0x1                  // scaleToBpe: accumulate d0 lower and *= bpe into Cin addr
v_cndmask_b32 v152, -1, v152, s[56:57]             // LDD clip if OOB. offset
/* (d1,vc1,d0,vc0)=(3,0,0,0) */
_v_add_co_u32 v1, vcc, v1, 29                      // coord1.1: coord1Vgpr += d1*sg1*VW + vc1

/* Fix for UseInitialStridesCD, emitAddressSetupCode */
s_mul_i32 s52, s[sgprStrideC1J], 29                // scale stride
_v_add_u32 v2, v2, s52                             // ROWINC- Move cinRowPtr to next row
s_mul_i32 s52, s[sgprStrideD1J], 29                // scale stride
_v_add_u32 v3, v3, s52                             // Move coutRowPtr to next row
v_cmp_lt_u32 s[52:53], v0, s[sgprSizeI]            // coord0 < size0
v_cmp_lt_u32 s[56:57], v1, s[sgprSizeJ]            // coord1 < size1
s_and_b64 s[56:57], s[52:53], s[56:57]             // in0 && in1
_v_add_lshl_u32 v154, v3, v0, 0x1                  // scaleToBpe: accumulate d0 lower and *= bpe into Cin addr
v_cndmask_b32 v154, -1, v154, s[56:57]             // LDD clip if OOB. offset
/* (d1,vc1,d0,vc0)=(3,0,1,0) */
_v_add_co_u32 v4, vcc, v0, 32                      // coord0.1: coord0 += d0*sg0*VW + vc0
v_cmp_lt_u32 s[52:53], v4, s[sgprSizeI]            // coord0 < size0
v_cmp_lt_u32 s[56:57], v1, s[sgprSizeJ]            // coord1 < size1
s_and_b64 s[56:57], s[52:53], s[56:57]             // in0 && in1
_v_add_lshl_u32 v156, v3, v4, 0x1                  // scaleToBpe: accumulate d0 lower and *= bpe into Cin addr
v_cndmask_b32 v156, -1, v156, s[56:57]             // LDD clip if OOB. offset
/* (d1,vc1,d0,vc0)=(3,0,2,0) */
_v_add_co_u32 v4, vcc, v0, 64                      // coord0.1: coord0 += d0*sg0*VW + vc0
v_cmp_lt_u32 s[52:53], v4, s[sgprSizeI]            // coord0 < size0
v_cmp_lt_u32 s[56:57], v1, s[sgprSizeJ]            // coord1 < size1
s_and_b64 s[56:57], s[52:53], s[56:57]             // in0 && in1
_v_add_lshl_u32 v158, v3, v4, 0x1                  // scaleToBpe: accumulate d0 lower and *= bpe into Cin addr
v_cndmask_b32 v158, -1, v158, s[56:57]             // LDD clip if OOB. offset
/* (d1,vc1,d0,vc0)=(3,0,3,0) */
s_mov_b32 s52, 96                                  // coordOffset0 d0=3 vc0=0
_v_add_co_u32 v4, vcc, v0, s52                     // coord0.2: coord0 += d0*sg0*VW + vc0
v_cmp_lt_u32 s[52:53], v4, s[sgprSizeI]            // coord0 < size0
v_cmp_lt_u32 s[56:57], v1, s[sgprSizeJ]            // coord1 < size1
s_and_b64 s[56:57], s[52:53], s[56:57]             // in0 && in1
_v_add_lshl_u32 v160, v3, v4, 0x1                  // scaleToBpe: accumulate d0 lower and *= bpe into Cin addr
v_cndmask_b32 v160, -1, v160, s[56:57]             // LDD clip if OOB. offset
/* (d1,vc1,d0,vc0)=(3,0,4,0) */
s_mov_b32 s52, 128                                 // coordOffset0 d0=4 vc0=0
_v_add_co_u32 v4, vcc, v0, s52                     // coord0.2: coord0 += d0*sg0*VW + vc0
v_cmp_lt_u32 s[52:53], v4, s[sgprSizeI]            // coord0 < size0
v_cmp_lt_u32 s[56:57], v1, s[sgprSizeJ]            // coord1 < size1
s_and_b64 s[56:57], s[52:53], s[56:57]             // in0 && in1
_v_add_lshl_u32 v162, v3, v4, 0x1                  // scaleToBpe: accumulate d0 lower and *= bpe into Cin addr
v_cndmask_b32 v162, -1, v162, s[56:57]             // LDD clip if OOB. offset
/* (d1,vc1,d0,vc0)=(3,0,5,0) */
s_mov_b32 s52, 160                                 // coordOffset0 d0=5 vc0=0
_v_add_co_u32 v4, vcc, v0, s52                     // coord0.2: coord0 += d0*sg0*VW + vc0
v_cmp_lt_u32 s[52:53], v4, s[sgprSizeI]            // coord0 < size0
v_cmp_lt_u32 s[56:57], v1, s[sgprSizeJ]            // coord1 < size1
s_and_b64 s[56:57], s[52:53], s[56:57]             // in0 && in1
_v_add_lshl_u32 v164, v3, v4, 0x1                  // scaleToBpe: accumulate d0 lower and *= bpe into Cin addr
v_cndmask_b32 v164, -1, v164, s[56:57]             // LDD clip if OOB. offset
/* (d1,vc1,d0,vc0)=(3,1,0,0) */
_v_add_co_u32 v1, vcc, v1, 1                       // coord1.1: coord1Vgpr += d1*sg1*VW + vc1

/* Fix for UseInitialStridesCD, emitAddressSetupCode */
_v_add_u32 v2, v2, s[sgprStrideC1J]                // ROWINC- Move cinRowPtr to next row
_v_add_u32 v3, v3, s[sgprStrideD1J]                // Move coutRowPtr to next row
v_cmp_lt_u32 s[52:53], v0, s[sgprSizeI]            // coord0 < size0
v_cmp_lt_u32 s[56:57], v1, s[sgprSizeJ]            // coord1 < size1
s_and_b64 s[56:57], s[52:53], s[56:57]             // in0 && in1
_v_add_lshl_u32 v166, v3, v0, 0x1                  // scaleToBpe: accumulate d0 lower and *= bpe into Cin addr
v_cndmask_b32 v166, -1, v166, s[56:57]             // LDD clip if OOB. offset
/* (d1,vc1,d0,vc0)=(3,1,1,0) */
_v_add_co_u32 v4, vcc, v0, 32                      // coord0.1: coord0 += d0*sg0*VW + vc0
v_cmp_lt_u32 s[52:53], v4, s[sgprSizeI]            // coord0 < size0
v_cmp_lt_u32 s[56:57], v1, s[sgprSizeJ]            // coord1 < size1
s_and_b64 s[56:57], s[52:53], s[56:57]             // in0 && in1
_v_add_lshl_u32 v168, v3, v4, 0x1                  // scaleToBpe: accumulate d0 lower and *= bpe into Cin addr
v_cndmask_b32 v168, -1, v168, s[56:57]             // LDD clip if OOB. offset
/* (d1,vc1,d0,vc0)=(3,1,2,0) */
_v_add_co_u32 v4, vcc, v0, 64                      // coord0.1: coord0 += d0*sg0*VW + vc0
v_cmp_lt_u32 s[52:53], v4, s[sgprSizeI]            // coord0 < size0
v_cmp_lt_u32 s[56:57], v1, s[sgprSizeJ]            // coord1 < size1
s_and_b64 s[56:57], s[52:53], s[56:57]             // in0 && in1
_v_add_lshl_u32 v170, v3, v4, 0x1                  // scaleToBpe: accumulate d0 lower and *= bpe into Cin addr
v_cndmask_b32 v170, -1, v170, s[56:57]             // LDD clip if OOB. offset
/* (d1,vc1,d0,vc0)=(3,1,3,0) */
s_mov_b32 s52, 96                                  // coordOffset0 d0=3 vc0=0
_v_add_co_u32 v4, vcc, v0, s52                     // coord0.2: coord0 += d0*sg0*VW + vc0
v_cmp_lt_u32 s[52:53], v4, s[sgprSizeI]            // coord0 < size0
v_cmp_lt_u32 s[56:57], v1, s[sgprSizeJ]            // coord1 < size1
s_and_b64 s[56:57], s[52:53], s[56:57]             // in0 && in1
_v_add_lshl_u32 v175, v3, v4, 0x1                  // scaleToBpe: accumulate d0 lower and *= bpe into Cin addr
v_cndmask_b32 v175, -1, v175, s[56:57]             // LDD clip if OOB. offset
/* (d1,vc1,d0,vc0)=(3,1,4,0) */
s_mov_b32 s52, 128                                 // coordOffset0 d0=4 vc0=0
_v_add_co_u32 v4, vcc, v0, s52                     // coord0.2: coord0 += d0*sg0*VW + vc0
v_cmp_lt_u32 s[52:53], v4, s[sgprSizeI]            // coord0 < size0
v_cmp_lt_u32 s[56:57], v1, s[sgprSizeJ]            // coord1 < size1
s_and_b64 s[56:57], s[52:53], s[56:57]             // in0 && in1
_v_add_lshl_u32 v177, v3, v4, 0x1                  // scaleToBpe: accumulate d0 lower and *= bpe into Cin addr
v_cndmask_b32 v177, -1, v177, s[56:57]             // LDD clip if OOB. offset
/* (d1,vc1,d0,vc0)=(3,1,5,0) */
s_mov_b32 s52, 160                                 // coordOffset0 d0=5 vc0=0
_v_add_co_u32 v4, vcc, v0, s52                     // coord0.2: coord0 += d0*sg0*VW + vc0
v_cmp_lt_u32 s[52:53], v4, s[sgprSizeI]            // coord0 < size0
v_cmp_lt_u32 s[56:57], v1, s[sgprSizeJ]            // coord1 < size1
s_and_b64 s[56:57], s[52:53], s[56:57]             // in0 && in1
_v_add_lshl_u32 v179, v3, v4, 0x1                  // scaleToBpe: accumulate d0 lower and *= bpe into Cin addr
v_cndmask_b32 v179, -1, v179, s[56:57]             // LDD clip if OOB. offset
/* (d1,vc1,d0,vc0)=(3,2,0,0) */
_v_add_co_u32 v1, vcc, v1, 1                       // coord1.1: coord1Vgpr += d1*sg1*VW + vc1

/* Fix for UseInitialStridesCD, emitAddressSetupCode */
_v_add_u32 v2, v2, s[sgprStrideC1J]                // ROWINC- Move cinRowPtr to next row
_v_add_u32 v3, v3, s[sgprStrideD1J]                // Move coutRowPtr to next row
	;; [unrolled: 49-line block ×3, first 2 shown]
v_cmp_lt_u32 s[52:53], v0, s[sgprSizeI]            // coord0 < size0
v_cmp_lt_u32 s[56:57], v1, s[sgprSizeJ]            // coord1 < size1
s_and_b64 s[56:57], s[52:53], s[56:57]             // in0 && in1
_v_add_lshl_u32 v193, v3, v0, 0x1                  // scaleToBpe: accumulate d0 lower and *= bpe into Cin addr
v_cndmask_b32 v193, -1, v193, s[56:57]             // LDD clip if OOB. offset
/* (d1,vc1,d0,vc0)=(3,3,1,0) */
_v_add_co_u32 v4, vcc, v0, 32                      // coord0.1: coord0 += d0*sg0*VW + vc0
v_cmp_lt_u32 s[52:53], v4, s[sgprSizeI]            // coord0 < size0
v_cmp_lt_u32 s[56:57], v1, s[sgprSizeJ]            // coord1 < size1
s_and_b64 s[56:57], s[52:53], s[56:57]             // in0 && in1
_v_add_lshl_u32 v195, v3, v4, 0x1                  // scaleToBpe: accumulate d0 lower and *= bpe into Cin addr
v_cndmask_b32 v195, -1, v195, s[56:57]             // LDD clip if OOB. offset
/* (d1,vc1,d0,vc0)=(3,3,2,0) */
_v_add_co_u32 v4, vcc, v0, 64                      // coord0.1: coord0 += d0*sg0*VW + vc0
v_cmp_lt_u32 s[52:53], v4, s[sgprSizeI]            // coord0 < size0
v_cmp_lt_u32 s[56:57], v1, s[sgprSizeJ]            // coord1 < size1
s_and_b64 s[56:57], s[52:53], s[56:57]             // in0 && in1
_v_add_lshl_u32 v197, v3, v4, 0x1                  // scaleToBpe: accumulate d0 lower and *= bpe into Cin addr
v_cndmask_b32 v197, -1, v197, s[56:57]             // LDD clip if OOB. offset
/* (d1,vc1,d0,vc0)=(3,3,3,0) */
s_mov_b32 s52, 96                                  // coordOffset0 d0=3 vc0=0
_v_add_co_u32 v4, vcc, v0, s52                     // coord0.2: coord0 += d0*sg0*VW + vc0
v_cmp_lt_u32 s[52:53], v4, s[sgprSizeI]            // coord0 < size0
v_cmp_lt_u32 s[56:57], v1, s[sgprSizeJ]            // coord1 < size1
s_and_b64 s[56:57], s[52:53], s[56:57]             // in0 && in1
_v_add_lshl_u32 v199, v3, v4, 0x1                  // scaleToBpe: accumulate d0 lower and *= bpe into Cin addr
v_cndmask_b32 v199, -1, v199, s[56:57]             // LDD clip if OOB. offset
/* (d1,vc1,d0,vc0)=(3,3,4,0) */
s_mov_b32 s52, 128                                 // coordOffset0 d0=4 vc0=0
_v_add_co_u32 v4, vcc, v0, s52                     // coord0.2: coord0 += d0*sg0*VW + vc0
v_cmp_lt_u32 s[52:53], v4, s[sgprSizeI]            // coord0 < size0
v_cmp_lt_u32 s[56:57], v1, s[sgprSizeJ]            // coord1 < size1
s_and_b64 s[56:57], s[52:53], s[56:57]             // in0 && in1
_v_add_lshl_u32 v201, v3, v4, 0x1                  // scaleToBpe: accumulate d0 lower and *= bpe into Cin addr
v_cndmask_b32 v201, -1, v201, s[56:57]             // LDD clip if OOB. offset
/* (d1,vc1,d0,vc0)=(3,3,5,0) */
s_mov_b32 s52, 160                                 // coordOffset0 d0=5 vc0=0
_v_add_co_u32 v4, vcc, v0, s52                     // coord0.2: coord0 += d0*sg0*VW + vc0
v_cmp_lt_u32 s[52:53], v4, s[sgprSizeI]            // coord0 < size0
v_cmp_lt_u32 s[56:57], v1, s[sgprSizeJ]            // coord1 < size1
s_and_b64 s[56:57], s[52:53], s[56:57]             // in0 && in1
_v_add_lshl_u32 v203, v3, v4, 0x1                  // scaleToBpe: accumulate d0 lower and *= bpe into Cin addr
v_cndmask_b32 v203, -1, v203, s[56:57]             // LDD clip if OOB. offset
/* (d1,vc1,d0,vc0)=(4,0,0,0) */
_v_add_co_u32 v1, vcc, v1, 29                      // coord1.1: coord1Vgpr += d1*sg1*VW + vc1

/* Fix for UseInitialStridesCD, emitAddressSetupCode */
s_mul_i32 s52, s[sgprStrideC1J], 29                // scale stride
_v_add_u32 v2, v2, s52                             // ROWINC- Move cinRowPtr to next row
s_mul_i32 s52, s[sgprStrideD1J], 29                // scale stride
_v_add_u32 v3, v3, s52                             // Move coutRowPtr to next row
v_cmp_lt_u32 s[52:53], v0, s[sgprSizeI]            // coord0 < size0
v_cmp_lt_u32 s[56:57], v1, s[sgprSizeJ]            // coord1 < size1
s_and_b64 s[56:57], s[52:53], s[56:57]             // in0 && in1
_v_add_lshl_u32 v205, v3, v0, 0x1                  // scaleToBpe: accumulate d0 lower and *= bpe into Cin addr
v_cndmask_b32 v205, -1, v205, s[56:57]             // LDD clip if OOB. offset
/* (d1,vc1,d0,vc0)=(4,0,1,0) */
_v_add_co_u32 v4, vcc, v0, 32                      // coord0.1: coord0 += d0*sg0*VW + vc0
v_cmp_lt_u32 s[52:53], v4, s[sgprSizeI]            // coord0 < size0
v_cmp_lt_u32 s[56:57], v1, s[sgprSizeJ]            // coord1 < size1
s_and_b64 s[56:57], s[52:53], s[56:57]             // in0 && in1
_v_add_lshl_u32 v207, v3, v4, 0x1                  // scaleToBpe: accumulate d0 lower and *= bpe into Cin addr
v_cndmask_b32 v207, -1, v207, s[56:57]             // LDD clip if OOB. offset
/* (d1,vc1,d0,vc0)=(4,0,2,0) */
_v_add_co_u32 v4, vcc, v0, 64                      // coord0.1: coord0 += d0*sg0*VW + vc0
v_cmp_lt_u32 s[52:53], v4, s[sgprSizeI]            // coord0 < size0
v_cmp_lt_u32 s[56:57], v1, s[sgprSizeJ]            // coord1 < size1
s_and_b64 s[56:57], s[52:53], s[56:57]             // in0 && in1
_v_add_lshl_u32 v209, v3, v4, 0x1                  // scaleToBpe: accumulate d0 lower and *= bpe into Cin addr
v_cndmask_b32 v209, -1, v209, s[56:57]             // LDD clip if OOB. offset
/* (d1,vc1,d0,vc0)=(4,0,3,0) */
s_mov_b32 s52, 96                                  // coordOffset0 d0=3 vc0=0
_v_add_co_u32 v4, vcc, v0, s52                     // coord0.2: coord0 += d0*sg0*VW + vc0
v_cmp_lt_u32 s[52:53], v4, s[sgprSizeI]            // coord0 < size0
v_cmp_lt_u32 s[56:57], v1, s[sgprSizeJ]            // coord1 < size1
s_and_b64 s[56:57], s[52:53], s[56:57]             // in0 && in1
_v_add_lshl_u32 v211, v3, v4, 0x1                  // scaleToBpe: accumulate d0 lower and *= bpe into Cin addr
v_cndmask_b32 v211, -1, v211, s[56:57]             // LDD clip if OOB. offset
/* (d1,vc1,d0,vc0)=(4,0,4,0) */
s_mov_b32 s52, 128                                 // coordOffset0 d0=4 vc0=0
_v_add_co_u32 v4, vcc, v0, s52                     // coord0.2: coord0 += d0*sg0*VW + vc0
v_cmp_lt_u32 s[52:53], v4, s[sgprSizeI]            // coord0 < size0
v_cmp_lt_u32 s[56:57], v1, s[sgprSizeJ]            // coord1 < size1
s_and_b64 s[56:57], s[52:53], s[56:57]             // in0 && in1
_v_add_lshl_u32 v213, v3, v4, 0x1                  // scaleToBpe: accumulate d0 lower and *= bpe into Cin addr
v_cndmask_b32 v213, -1, v213, s[56:57]             // LDD clip if OOB. offset
/* (d1,vc1,d0,vc0)=(4,0,5,0) */
s_mov_b32 s52, 160                                 // coordOffset0 d0=5 vc0=0
_v_add_co_u32 v4, vcc, v0, s52                     // coord0.2: coord0 += d0*sg0*VW + vc0
v_cmp_lt_u32 s[52:53], v4, s[sgprSizeI]            // coord0 < size0
v_cmp_lt_u32 s[56:57], v1, s[sgprSizeJ]            // coord1 < size1
s_and_b64 s[56:57], s[52:53], s[56:57]             // in0 && in1
_v_add_lshl_u32 v215, v3, v4, 0x1                  // scaleToBpe: accumulate d0 lower and *= bpe into Cin addr
v_cndmask_b32 v215, -1, v215, s[56:57]             // LDD clip if OOB. offset
/* (d1,vc1,d0,vc0)=(4,1,0,0) */
_v_add_co_u32 v1, vcc, v1, 1                       // coord1.1: coord1Vgpr += d1*sg1*VW + vc1

/* Fix for UseInitialStridesCD, emitAddressSetupCode */
_v_add_u32 v2, v2, s[sgprStrideC1J]                // ROWINC- Move cinRowPtr to next row
_v_add_u32 v3, v3, s[sgprStrideD1J]                // Move coutRowPtr to next row
v_cmp_lt_u32 s[52:53], v0, s[sgprSizeI]            // coord0 < size0
v_cmp_lt_u32 s[56:57], v1, s[sgprSizeJ]            // coord1 < size1
s_and_b64 s[56:57], s[52:53], s[56:57]             // in0 && in1
_v_add_lshl_u32 v217, v3, v0, 0x1                  // scaleToBpe: accumulate d0 lower and *= bpe into Cin addr
v_cndmask_b32 v217, -1, v217, s[56:57]             // LDD clip if OOB. offset
/* (d1,vc1,d0,vc0)=(4,1,1,0) */
_v_add_co_u32 v4, vcc, v0, 32                      // coord0.1: coord0 += d0*sg0*VW + vc0
v_cmp_lt_u32 s[52:53], v4, s[sgprSizeI]            // coord0 < size0
v_cmp_lt_u32 s[56:57], v1, s[sgprSizeJ]            // coord1 < size1
s_and_b64 s[56:57], s[52:53], s[56:57]             // in0 && in1
_v_add_lshl_u32 v219, v3, v4, 0x1                  // scaleToBpe: accumulate d0 lower and *= bpe into Cin addr
v_cndmask_b32 v219, -1, v219, s[56:57]             // LDD clip if OOB. offset
/* (d1,vc1,d0,vc0)=(4,1,2,0) */
_v_add_co_u32 v4, vcc, v0, 64                      // coord0.1: coord0 += d0*sg0*VW + vc0
v_cmp_lt_u32 s[52:53], v4, s[sgprSizeI]            // coord0 < size0
v_cmp_lt_u32 s[56:57], v1, s[sgprSizeJ]            // coord1 < size1
s_and_b64 s[56:57], s[52:53], s[56:57]             // in0 && in1
_v_add_lshl_u32 v221, v3, v4, 0x1                  // scaleToBpe: accumulate d0 lower and *= bpe into Cin addr
v_cndmask_b32 v221, -1, v221, s[56:57]             // LDD clip if OOB. offset
/* (d1,vc1,d0,vc0)=(4,1,3,0) */
s_mov_b32 s52, 96                                  // coordOffset0 d0=3 vc0=0
_v_add_co_u32 v4, vcc, v0, s52                     // coord0.2: coord0 += d0*sg0*VW + vc0
v_cmp_lt_u32 s[52:53], v4, s[sgprSizeI]            // coord0 < size0
v_cmp_lt_u32 s[56:57], v1, s[sgprSizeJ]            // coord1 < size1
s_and_b64 s[56:57], s[52:53], s[56:57]             // in0 && in1
_v_add_lshl_u32 v223, v3, v4, 0x1                  // scaleToBpe: accumulate d0 lower and *= bpe into Cin addr
v_cndmask_b32 v223, -1, v223, s[56:57]             // LDD clip if OOB. offset
/* (d1,vc1,d0,vc0)=(4,1,4,0) */
s_mov_b32 s52, 128                                 // coordOffset0 d0=4 vc0=0
_v_add_co_u32 v4, vcc, v0, s52                     // coord0.2: coord0 += d0*sg0*VW + vc0
v_cmp_lt_u32 s[52:53], v4, s[sgprSizeI]            // coord0 < size0
v_cmp_lt_u32 s[56:57], v1, s[sgprSizeJ]            // coord1 < size1
s_and_b64 s[56:57], s[52:53], s[56:57]             // in0 && in1
_v_add_lshl_u32 v225, v3, v4, 0x1                  // scaleToBpe: accumulate d0 lower and *= bpe into Cin addr
v_cndmask_b32 v225, -1, v225, s[56:57]             // LDD clip if OOB. offset
/* (d1,vc1,d0,vc0)=(4,1,5,0) */
s_mov_b32 s52, 160                                 // coordOffset0 d0=5 vc0=0
_v_add_co_u32 v4, vcc, v0, s52                     // coord0.2: coord0 += d0*sg0*VW + vc0
v_cmp_lt_u32 s[52:53], v4, s[sgprSizeI]            // coord0 < size0
v_cmp_lt_u32 s[56:57], v1, s[sgprSizeJ]            // coord1 < size1
s_and_b64 s[56:57], s[52:53], s[56:57]             // in0 && in1
_v_add_lshl_u32 v227, v3, v4, 0x1                  // scaleToBpe: accumulate d0 lower and *= bpe into Cin addr
v_cndmask_b32 v227, -1, v227, s[56:57]             // LDD clip if OOB. offset
/* (d1,vc1,d0,vc0)=(4,2,0,0) */
_v_add_co_u32 v1, vcc, v1, 1                       // coord1.1: coord1Vgpr += d1*sg1*VW + vc1

/* Fix for UseInitialStridesCD, emitAddressSetupCode */
_v_add_u32 v2, v2, s[sgprStrideC1J]                // ROWINC- Move cinRowPtr to next row
_v_add_u32 v3, v3, s[sgprStrideD1J]                // Move coutRowPtr to next row
v_cmp_lt_u32 s[52:53], v0, s[sgprSizeI]            // coord0 < size0
v_cmp_lt_u32 s[56:57], v1, s[sgprSizeJ]            // coord1 < size1
s_and_b64 s[56:57], s[52:53], s[56:57]             // in0 && in1
_v_add_lshl_u32 v229, v3, v0, 0x1                  // scaleToBpe: accumulate d0 lower and *= bpe into Cin addr
v_cndmask_b32 v229, -1, v229, s[56:57]             // LDD clip if OOB. offset
/* (d1,vc1,d0,vc0)=(4,2,1,0) */
_v_add_co_u32 v4, vcc, v0, 32                      // coord0.1: coord0 += d0*sg0*VW + vc0
v_cmp_lt_u32 s[52:53], v4, s[sgprSizeI]            // coord0 < size0
v_cmp_lt_u32 s[56:57], v1, s[sgprSizeJ]            // coord1 < size1
s_and_b64 s[56:57], s[52:53], s[56:57]             // in0 && in1
_v_add_lshl_u32 v231, v3, v4, 0x1                  // scaleToBpe: accumulate d0 lower and *= bpe into Cin addr
v_cndmask_b32 v231, -1, v231, s[56:57]             // LDD clip if OOB. offset
/* (d1,vc1,d0,vc0)=(4,2,2,0) */
_v_add_co_u32 v4, vcc, v0, 64                      // coord0.1: coord0 += d0*sg0*VW + vc0
v_cmp_lt_u32 s[52:53], v4, s[sgprSizeI]            // coord0 < size0
v_cmp_lt_u32 s[56:57], v1, s[sgprSizeJ]            // coord1 < size1
s_and_b64 s[56:57], s[52:53], s[56:57]             // in0 && in1
_v_add_lshl_u32 v233, v3, v4, 0x1                  // scaleToBpe: accumulate d0 lower and *= bpe into Cin addr
v_cndmask_b32 v233, -1, v233, s[56:57]             // LDD clip if OOB. offset
/* (d1,vc1,d0,vc0)=(4,2,3,0) */
s_mov_b32 s52, 96                                  // coordOffset0 d0=3 vc0=0
_v_add_co_u32 v4, vcc, v0, s52                     // coord0.2: coord0 += d0*sg0*VW + vc0
v_cmp_lt_u32 s[52:53], v4, s[sgprSizeI]            // coord0 < size0
v_cmp_lt_u32 s[56:57], v1, s[sgprSizeJ]            // coord1 < size1
s_and_b64 s[56:57], s[52:53], s[56:57]             // in0 && in1
_v_add_lshl_u32 v235, v3, v4, 0x1                  // scaleToBpe: accumulate d0 lower and *= bpe into Cin addr
v_cndmask_b32 v235, -1, v235, s[56:57]             // LDD clip if OOB. offset
/* (d1,vc1,d0,vc0)=(4,2,4,0) */
s_mov_b32 s52, 128                                 // coordOffset0 d0=4 vc0=0
_v_add_co_u32 v4, vcc, v0, s52                     // coord0.2: coord0 += d0*sg0*VW + vc0
v_cmp_lt_u32 s[52:53], v4, s[sgprSizeI]            // coord0 < size0
v_cmp_lt_u32 s[56:57], v1, s[sgprSizeJ]            // coord1 < size1
s_and_b64 s[56:57], s[52:53], s[56:57]             // in0 && in1
_v_add_lshl_u32 v237, v3, v4, 0x1                  // scaleToBpe: accumulate d0 lower and *= bpe into Cin addr
v_cndmask_b32 v237, -1, v237, s[56:57]             // LDD clip if OOB. offset
/* (d1,vc1,d0,vc0)=(4,2,5,0) */
s_mov_b32 s52, 160                                 // coordOffset0 d0=5 vc0=0
_v_add_co_u32 v4, vcc, v0, s52                     // coord0.2: coord0 += d0*sg0*VW + vc0
v_cmp_lt_u32 s[52:53], v4, s[sgprSizeI]            // coord0 < size0
v_cmp_lt_u32 s[56:57], v1, s[sgprSizeJ]            // coord1 < size1
s_and_b64 s[56:57], s[52:53], s[56:57]             // in0 && in1
_v_add_lshl_u32 v239, v3, v4, 0x1                  // scaleToBpe: accumulate d0 lower and *= bpe into Cin addr
v_cndmask_b32 v239, -1, v239, s[56:57]             // LDD clip if OOB. offset
/* (d1,vc1,d0,vc0)=(4,3,0,0) */
_v_add_co_u32 v1, vcc, v1, 1                       // coord1.1: coord1Vgpr += d1*sg1*VW + vc1

/* Fix for UseInitialStridesCD, emitAddressSetupCode */
_v_add_u32 v2, v2, s[sgprStrideC1J]                // ROWINC- Move cinRowPtr to next row
_v_add_u32 v3, v3, s[sgprStrideD1J]                // Move coutRowPtr to next row
v_cmp_lt_u32 s[52:53], v0, s[sgprSizeI]            // coord0 < size0
v_cmp_lt_u32 s[56:57], v1, s[sgprSizeJ]            // coord1 < size1
s_and_b64 s[56:57], s[52:53], s[56:57]             // in0 && in1
_v_add_lshl_u32 v241, v3, v0, 0x1                  // scaleToBpe: accumulate d0 lower and *= bpe into Cin addr
v_cndmask_b32 v241, -1, v241, s[56:57]             // LDD clip if OOB. offset
/* (d1,vc1,d0,vc0)=(4,3,1,0) */
_v_add_co_u32 v4, vcc, v0, 32                      // coord0.1: coord0 += d0*sg0*VW + vc0
v_cmp_lt_u32 s[52:53], v4, s[sgprSizeI]            // coord0 < size0
v_cmp_lt_u32 s[56:57], v1, s[sgprSizeJ]            // coord1 < size1
s_and_b64 s[56:57], s[52:53], s[56:57]             // in0 && in1
_v_add_lshl_u32 v243, v3, v4, 0x1                  // scaleToBpe: accumulate d0 lower and *= bpe into Cin addr
v_cndmask_b32 v243, -1, v243, s[56:57]             // LDD clip if OOB. offset
/* (d1,vc1,d0,vc0)=(4,3,2,0) */
_v_add_co_u32 v4, vcc, v0, 64                      // coord0.1: coord0 += d0*sg0*VW + vc0
v_cmp_lt_u32 s[52:53], v4, s[sgprSizeI]            // coord0 < size0
v_cmp_lt_u32 s[56:57], v1, s[sgprSizeJ]            // coord1 < size1
s_and_b64 s[56:57], s[52:53], s[56:57]             // in0 && in1
_v_add_lshl_u32 v245, v3, v4, 0x1                  // scaleToBpe: accumulate d0 lower and *= bpe into Cin addr
v_cndmask_b32 v245, -1, v245, s[56:57]             // LDD clip if OOB. offset
/* (d1,vc1,d0,vc0)=(4,3,3,0) */
s_mov_b32 s52, 96                                  // coordOffset0 d0=3 vc0=0
_v_add_co_u32 v4, vcc, v0, s52                     // coord0.2: coord0 += d0*sg0*VW + vc0
v_cmp_lt_u32 s[52:53], v4, s[sgprSizeI]            // coord0 < size0
v_cmp_lt_u32 s[56:57], v1, s[sgprSizeJ]            // coord1 < size1
s_and_b64 s[56:57], s[52:53], s[56:57]             // in0 && in1
_v_add_lshl_u32 v247, v3, v4, 0x1                  // scaleToBpe: accumulate d0 lower and *= bpe into Cin addr
v_cndmask_b32 v247, -1, v247, s[56:57]             // LDD clip if OOB. offset
/* (d1,vc1,d0,vc0)=(4,3,4,0) */
s_mov_b32 s52, 128                                 // coordOffset0 d0=4 vc0=0
_v_add_co_u32 v4, vcc, v0, s52                     // coord0.2: coord0 += d0*sg0*VW + vc0
v_cmp_lt_u32 s[52:53], v4, s[sgprSizeI]            // coord0 < size0
v_cmp_lt_u32 s[56:57], v1, s[sgprSizeJ]            // coord1 < size1
s_and_b64 s[56:57], s[52:53], s[56:57]             // in0 && in1
_v_add_lshl_u32 v249, v3, v4, 0x1                  // scaleToBpe: accumulate d0 lower and *= bpe into Cin addr
v_cndmask_b32 v249, -1, v249, s[56:57]             // LDD clip if OOB. offset
/* (d1,vc1,d0,vc0)=(4,3,5,0) */
s_mov_b32 s52, 160                                 // coordOffset0 d0=5 vc0=0
_v_add_co_u32 v4, vcc, v0, s52                     // coord0.2: coord0 += d0*sg0*VW + vc0
v_cmp_lt_u32 s[52:53], v4, s[sgprSizeI]            // coord0 < size0
v_cmp_lt_u32 s[56:57], v1, s[sgprSizeJ]            // coord1 < size1
s_and_b64 s[56:57], s[52:53], s[56:57]             // in0 && in1
_v_add_lshl_u32 v251, v3, v4, 0x1                  // scaleToBpe: accumulate d0 lower and *= bpe into Cin addr
v_cndmask_b32 v251, -1, v251, s[56:57]             // LDD clip if OOB. offset
v_accvgpr_read_b32 v[vgprValuC+11], acc0 // copy acc to vreg[0]
v_accvgpr_read_b32 v[vgprValuC+13], acc4 // copy acc to vreg[1]
v_accvgpr_read_b32 v[vgprValuC+15], acc8 // copy acc to vreg[2]
v_accvgpr_read_b32 v[vgprValuC+17], acc12 // copy acc to vreg[3]
v_accvgpr_read_b32 v[vgprValuC+19], acc16 // copy acc to vreg[4]
v_accvgpr_read_b32 v[vgprValuC+21], acc20 // copy acc to vreg[5]
v_accvgpr_read_b32 v[vgprValuC+23], acc1 // copy acc to vreg[6]
v_accvgpr_read_b32 v[vgprValuC+25], acc5 // copy acc to vreg[7]
v_accvgpr_read_b32 v[vgprValuC+27], acc9 // copy acc to vreg[8]
v_accvgpr_read_b32 v[vgprValuC+29], acc13 // copy acc to vreg[9]
v_accvgpr_read_b32 v[vgprValuC+31], acc17 // copy acc to vreg[10]
v_accvgpr_read_b32 v[vgprValuC+33], acc21 // copy acc to vreg[11]
v_accvgpr_read_b32 v[vgprValuC+35], acc2 // copy acc to vreg[12]
v_accvgpr_read_b32 v[vgprValuC+37], acc6 // copy acc to vreg[13]
v_accvgpr_read_b32 v[vgprValuC+39], acc10 // copy acc to vreg[14]
v_accvgpr_read_b32 v[vgprValuC+41], acc14 // copy acc to vreg[15]
v_accvgpr_read_b32 v[vgprValuC+43], acc18 // copy acc to vreg[16]
v_accvgpr_read_b32 v[vgprValuC+45], acc22 // copy acc to vreg[17]
v_accvgpr_read_b32 v[vgprValuC+47], acc3 // copy acc to vreg[18]
v_accvgpr_read_b32 v[vgprValuC+49], acc7 // copy acc to vreg[19]
v_accvgpr_read_b32 v[vgprValuC+51], acc11 // copy acc to vreg[20]
v_accvgpr_read_b32 v[vgprValuC+53], acc15 // copy acc to vreg[21]
v_accvgpr_read_b32 v[vgprValuC+55], acc19 // copy acc to vreg[22]
v_accvgpr_read_b32 v[vgprValuC+57], acc23 // copy acc to vreg[23]
v_accvgpr_read_b32 v[vgprValuC+59], acc24 // copy acc to vreg[24]
v_accvgpr_read_b32 v[vgprValuC+61], acc28 // copy acc to vreg[25]
v_accvgpr_read_b32 v[vgprValuC+63], acc32 // copy acc to vreg[26]
v_accvgpr_read_b32 v[vgprValuC+65], acc36 // copy acc to vreg[27]
v_accvgpr_read_b32 v[vgprValuC+67], acc40 // copy acc to vreg[28]
v_accvgpr_read_b32 v[vgprValuC+69], acc44 // copy acc to vreg[29]
v_accvgpr_read_b32 v[vgprValuC+71], acc25 // copy acc to vreg[30]
v_accvgpr_read_b32 v[vgprValuC+73], acc29 // copy acc to vreg[31]
v_accvgpr_read_b32 v[vgprValuC+75], acc33 // copy acc to vreg[32]
v_accvgpr_read_b32 v[vgprValuC+77], acc37 // copy acc to vreg[33]
v_accvgpr_read_b32 v[vgprValuC+79], acc41 // copy acc to vreg[34]
v_accvgpr_read_b32 v[vgprValuC+81], acc45 // copy acc to vreg[35]
v_accvgpr_read_b32 v[vgprValuC+83], acc26 // copy acc to vreg[36]
v_accvgpr_read_b32 v[vgprValuC+85], acc30 // copy acc to vreg[37]
v_accvgpr_read_b32 v[vgprValuC+87], acc34 // copy acc to vreg[38]
v_accvgpr_read_b32 v[vgprValuC+89], acc38 // copy acc to vreg[39]
v_accvgpr_read_b32 v[vgprValuC+91], acc42 // copy acc to vreg[40]
v_accvgpr_read_b32 v[vgprValuC+93], acc46 // copy acc to vreg[41]
v_accvgpr_read_b32 v[vgprValuC+95], acc27 // copy acc to vreg[42]
v_accvgpr_read_b32 v[vgprValuC+97], acc31 // copy acc to vreg[43]
v_accvgpr_read_b32 v[vgprValuC+99], acc35 // copy acc to vreg[44]
v_accvgpr_read_b32 v[vgprValuC+101], acc39 // copy acc to vreg[45]
v_accvgpr_read_b32 v[vgprValuC+103], acc43 // copy acc to vreg[46]
v_accvgpr_read_b32 v[vgprValuC+105], acc47 // copy acc to vreg[47]
v_accvgpr_read_b32 v[vgprValuC+107], acc48 // copy acc to vreg[48]
v_accvgpr_read_b32 v[vgprValuC+109], acc52 // copy acc to vreg[49]
v_accvgpr_read_b32 v[vgprValuC+111], acc56 // copy acc to vreg[50]
v_accvgpr_read_b32 v[vgprValuC+113], acc60 // copy acc to vreg[51]
v_accvgpr_read_b32 v[vgprValuC+115], acc64 // copy acc to vreg[52]
v_accvgpr_read_b32 v[vgprValuC+117], acc68 // copy acc to vreg[53]
v_accvgpr_read_b32 v[vgprValuC+119], acc49 // copy acc to vreg[54]
v_accvgpr_read_b32 v[vgprValuC+121], acc53 // copy acc to vreg[55]
v_accvgpr_read_b32 v[vgprValuC+123], acc57 // copy acc to vreg[56]
v_accvgpr_read_b32 v[vgprValuC+125], acc61 // copy acc to vreg[57]
v_accvgpr_read_b32 v[vgprValuC+127], acc65 // copy acc to vreg[58]
v_accvgpr_read_b32 v[vgprValuC+129], acc69 // copy acc to vreg[59]
v_accvgpr_read_b32 v[vgprValuC+131], acc50 // copy acc to vreg[60]
v_accvgpr_read_b32 v[vgprValuC+133], acc54 // copy acc to vreg[61]
v_accvgpr_read_b32 v[vgprValuC+135], acc58 // copy acc to vreg[62]
v_accvgpr_read_b32 v[vgprValuC+137], acc62 // copy acc to vreg[63]
v_accvgpr_read_b32 v[vgprValuC+139], acc66 // copy acc to vreg[64]
v_accvgpr_read_b32 v[vgprValuC+141], acc70 // copy acc to vreg[65]
v_accvgpr_read_b32 v[vgprValuC+143], acc51 // copy acc to vreg[66]
v_accvgpr_read_b32 v[vgprValuC+145], acc55 // copy acc to vreg[67]
v_accvgpr_read_b32 v[vgprValuC+147], acc59 // copy acc to vreg[68]
v_accvgpr_read_b32 v[vgprValuC+149], acc63 // copy acc to vreg[69]
v_accvgpr_read_b32 v[vgprValuC+151], acc67 // copy acc to vreg[70]
v_accvgpr_read_b32 v[vgprValuC+153], acc71 // copy acc to vreg[71]
v_accvgpr_read_b32 v[vgprValuC+155], acc72 // copy acc to vreg[72]
v_accvgpr_read_b32 v[vgprValuC+157], acc76 // copy acc to vreg[73]
v_accvgpr_read_b32 v[vgprValuC+159], acc80 // copy acc to vreg[74]
v_accvgpr_read_b32 v[vgprValuC+161], acc84 // copy acc to vreg[75]
v_accvgpr_read_b32 v[vgprValuC+163], acc88 // copy acc to vreg[76]
v_accvgpr_read_b32 v[vgprValuC+165], acc92 // copy acc to vreg[77]
v_accvgpr_read_b32 v[vgprValuC+167], acc73 // copy acc to vreg[78]
v_accvgpr_read_b32 v[vgprValuC+169], acc77 // copy acc to vreg[79]
v_accvgpr_read_b32 v[vgprValuC+171], acc81 // copy acc to vreg[80]
v_accvgpr_read_b32 v[vgprValuC+176], acc85 // copy acc to vreg[81]
v_accvgpr_read_b32 v[vgprValuC+178], acc89 // copy acc to vreg[82]
v_accvgpr_read_b32 v[vgprValuC+180], acc93 // copy acc to vreg[83]
v_accvgpr_read_b32 v[vgprValuC+182], acc74 // copy acc to vreg[84]
v_accvgpr_read_b32 v[vgprValuC+184], acc78 // copy acc to vreg[85]
v_accvgpr_read_b32 v[vgprValuC+186], acc82 // copy acc to vreg[86]
v_accvgpr_read_b32 v[vgprValuC+188], acc86 // copy acc to vreg[87]
v_accvgpr_read_b32 v[vgprValuC+190], acc90 // copy acc to vreg[88]
v_accvgpr_read_b32 v[vgprValuC+192], acc94 // copy acc to vreg[89]
v_accvgpr_read_b32 v[vgprValuC+194], acc75 // copy acc to vreg[90]
v_accvgpr_read_b32 v[vgprValuC+196], acc79 // copy acc to vreg[91]
v_accvgpr_read_b32 v[vgprValuC+198], acc83 // copy acc to vreg[92]
v_accvgpr_read_b32 v[vgprValuC+200], acc87 // copy acc to vreg[93]
v_accvgpr_read_b32 v[vgprValuC+202], acc91 // copy acc to vreg[94]
v_accvgpr_read_b32 v[vgprValuC+204], acc95 // copy acc to vreg[95]
v_accvgpr_read_b32 v[vgprValuC+206], acc96 // copy acc to vreg[96]
v_accvgpr_read_b32 v[vgprValuC+208], acc100 // copy acc to vreg[97]
v_accvgpr_read_b32 v[vgprValuC+210], acc104 // copy acc to vreg[98]
v_accvgpr_read_b32 v[vgprValuC+212], acc108 // copy acc to vreg[99]
v_accvgpr_read_b32 v[vgprValuC+214], acc112 // copy acc to vreg[100]
v_accvgpr_read_b32 v[vgprValuC+216], acc116 // copy acc to vreg[101]
v_accvgpr_read_b32 v[vgprValuC+218], acc97 // copy acc to vreg[102]
v_accvgpr_read_b32 v[vgprValuC+220], acc101 // copy acc to vreg[103]
v_accvgpr_read_b32 v[vgprValuC+222], acc105 // copy acc to vreg[104]
v_accvgpr_read_b32 v[vgprValuC+224], acc109 // copy acc to vreg[105]
v_accvgpr_read_b32 v[vgprValuC+226], acc113 // copy acc to vreg[106]
v_accvgpr_read_b32 v[vgprValuC+228], acc117 // copy acc to vreg[107]
v_accvgpr_read_b32 v[vgprValuC+230], acc98 // copy acc to vreg[108]
v_accvgpr_read_b32 v[vgprValuC+232], acc102 // copy acc to vreg[109]
v_accvgpr_read_b32 v[vgprValuC+234], acc106 // copy acc to vreg[110]
v_accvgpr_read_b32 v[vgprValuC+236], acc110 // copy acc to vreg[111]
v_accvgpr_read_b32 v[vgprValuC+238], acc114 // copy acc to vreg[112]
v_accvgpr_read_b32 v[vgprValuC+240], acc118 // copy acc to vreg[113]
v_accvgpr_read_b32 v[vgprValuC+242], acc99 // copy acc to vreg[114]
v_accvgpr_read_b32 v[vgprValuC+244], acc103 // copy acc to vreg[115]
v_accvgpr_read_b32 v[vgprValuC+246], acc107 // copy acc to vreg[116]
v_accvgpr_read_b32 v[vgprValuC+248], acc111 // copy acc to vreg[117]
v_accvgpr_read_b32 v[vgprValuC+250], acc115 // copy acc to vreg[118]
v_accvgpr_read_b32 v[vgprValuC+252], acc119 // copy acc to vreg[119]
s_nop 1                                            // 2 wait states required before reading vgpr

/* rC *= alpha batchElements=[(0, 0, 0, 0), (0, 1, 0, 0), (0, 2, 0, 0), (0, 3, 0, 0), (0, 4, 0, 0), (0, 5, 0, 0), (0, 0, 1, 0), (0, 1, 1, 0), (0, 2, 1, 0), (0, 3, 1, 0), (0, 4, 1, 0), (0, 5, 1, 0), (0, 0, 2, 0), (0, 1, 2, 0), (0, 2, 2, 0), (0, 3, 2, 0), (0, 4, 2, 0), (0, 5, 2, 0), (0, 0, 3, 0), (0, 1, 3, 0), (0, 2, 3, 0), (0, 3, 3, 0), (0, 4, 3, 0), (0, 5, 3, 0), (1, 0, 0, 0), (1, 1, 0, 0), (1, 2, 0, 0), (1, 3, 0, 0), (1, 4, 0, 0), (1, 5, 0, 0), (1, 0, 1, 0), (1, 1, 1, 0), (1, 2, 1, 0), (1, 3, 1, 0), (1, 4, 1, 0), (1, 5, 1, 0), (1, 0, 2, 0), (1, 1, 2, 0), (1, 2, 2, 0), (1, 3, 2, 0), (1, 4, 2, 0), (1, 5, 2, 0), (1, 0, 3, 0), (1, 1, 3, 0), (1, 2, 3, 0), (1, 3, 3, 0), (1, 4, 3, 0), (1, 5, 3, 0), (2, 0, 0, 0), (2, 1, 0, 0), (2, 2, 0, 0), (2, 3, 0, 0), (2, 4, 0, 0), (2, 5, 0, 0), (2, 0, 1, 0), (2, 1, 1, 0), (2, 2, 1, 0), (2, 3, 1, 0), (2, 4, 1, 0), (2, 5, 1, 0), (2, 0, 2, 0), (2, 1, 2, 0), (2, 2, 2, 0), (2, 3, 2, 0), (2, 4, 2, 0), (2, 5, 2, 0), (2, 0, 3, 0), (2, 1, 3, 0), (2, 2, 3, 0), (2, 3, 3, 0), (2, 4, 3, 0), (2, 5, 3, 0), (3, 0, 0, 0), (3, 1, 0, 0), (3, 2, 0, 0), (3, 3, 0, 0), (3, 4, 0, 0), (3, 5, 0, 0), (3, 0, 1, 0), (3, 1, 1, 0), (3, 2, 1, 0), (3, 3, 1, 0), (3, 4, 1, 0), (3, 5, 1, 0), (3, 0, 2, 0), (3, 1, 2, 0), (3, 2, 2, 0), (3, 3, 2, 0), (3, 4, 2, 0), (3, 5, 2, 0), (3, 0, 3, 0), (3, 1, 3, 0), (3, 2, 3, 0), (3, 3, 3, 0), (3, 4, 3, 0), (3, 5, 3, 0), (4, 0, 0, 0), (4, 1, 0, 0), (4, 2, 0, 0), (4, 3, 0, 0), (4, 4, 0, 0), (4, 5, 0, 0), (4, 0, 1, 0), (4, 1, 1, 0), (4, 2, 1, 0), (4, 3, 1, 0), (4, 4, 1, 0), (4, 5, 1, 0), (4, 0, 2, 0), (4, 1, 2, 0), (4, 2, 2, 0), (4, 3, 2, 0), (4, 4, 2, 0), (4, 5, 2, 0), (4, 0, 3, 0), (4, 1, 3, 0), (4, 2, 3, 0), (4, 3, 3, 0), (4, 4, 3, 0), (4, 5, 3, 0)] */
v_mul_f32 v[vgprValuC+11], s[sgprAlpha], v[vgprValuC+11] // *= alpha
v_mul_f32 v[vgprValuC+13], s[sgprAlpha], v[vgprValuC+13] // *= alpha
	;; [unrolled: 1-line block ×120, first 2 shown]

/* apply mask, calc new C and issue writes */
v_mov_b32 v7, 0xffff0000                           // mask for pack two bfloat16 element to 32bit
v_mov_b32 v8, 0x7fff0000                           // fp32 Nan
v_mov_b32 v9, 0x7fff                               // rounding bias for bfloat16
v_cmp_u_f32 s[52:53], v[vgprValuC+11], v[vgprValuC+11] // check Nan
v_bfe_u32 v6, v[vgprValuC+11], 16, 1               // Non-Nan case: store lsb of bf16
v_add3_u32 v6, v[vgprValuC+11], v6, v9             // Non-Nan case: add lsb and the increment for rounding
v_cndmask_b32 v[vgprValuC+11], v6, v8, s[52:53]    // 
v_lshrrev_b32 v[vgprValuC+11], 16, v[vgprValuC+11] // convert C to bf16
_buffer_store_b16 v11, v10, s[sgprSrdD:sgprSrdD+3], 0, offen, offset:0,  sc0 sc1 // store D
v_cmp_u_f32 s[52:53], v[vgprValuC+13], v[vgprValuC+13] // check Nan
v_bfe_u32 v6, v[vgprValuC+13], 16, 1               // Non-Nan case: store lsb of bf16
v_add3_u32 v6, v[vgprValuC+13], v6, v9             // Non-Nan case: add lsb and the increment for rounding
v_cndmask_b32 v[vgprValuC+13], v6, v8, s[52:53]    // 
v_lshrrev_b32 v[vgprValuC+13], 16, v[vgprValuC+13] // convert C to bf16
_buffer_store_b16 v13, v12, s[sgprSrdD:sgprSrdD+3], 0, offen, offset:0,  sc0 sc1 // store D
	;; [unrolled: 6-line block ×45, first 2 shown]
v_cmp_u_f32 s[52:53], v[vgprValuC+101], v[vgprValuC+101] // check Nan
v_bfe_u32 v6, v[vgprValuC+101], 16, 1              // Non-Nan case: store lsb of bf16
v_add3_u32 v6, v[vgprValuC+101], v6, v9            // Non-Nan case: add lsb and the increment for rounding
v_cndmask_b32 v[vgprValuC+101], v6, v8, s[52:53]   // 
v_lshrrev_b32 v[vgprValuC+101], 16, v[vgprValuC+101] // convert C to bf16
_buffer_store_b16 v101, v100, s[sgprSrdD:sgprSrdD+3], 0, offen, offset:0,  sc0 sc1 // store D
v_cmp_u_f32 s[52:53], v[vgprValuC+103], v[vgprValuC+103] // check Nan
v_bfe_u32 v6, v[vgprValuC+103], 16, 1              // Non-Nan case: store lsb of bf16
v_add3_u32 v6, v[vgprValuC+103], v6, v9            // Non-Nan case: add lsb and the increment for rounding
v_cndmask_b32 v[vgprValuC+103], v6, v8, s[52:53]   // 
v_lshrrev_b32 v[vgprValuC+103], 16, v[vgprValuC+103] // convert C to bf16
_buffer_store_b16 v103, v102, s[sgprSrdD:sgprSrdD+3], 0, offen, offset:0,  sc0 sc1 // store D
	;; [unrolled: 6-line block ×75, first 2 shown]
s_nop 0                                            // 1 wait state required when next inst writes vgprs held by previous dwordx4 store inst
/* optSingleColVgpr=0 optSharedColVgpr=0 optSGPRUsage=BufferLoad_Edge_Mask optSrdIncForRow=0 */
s_sleep 5 // optimization: sync and wait
s_barrier

/******************************************/
/* Global Write Alpha Edge Batch #1 (d1,d0,vc1,vc0) = */
/*    (5,0,0,0:vw1); (5,1,0,0:vw1); (5,2,0,0:vw1); (5,3,0,0:vw1); (5,4,0,0:vw1); (5,5,0,0:vw1); (5,0,1,0:vw1); (5,1,1,0:vw1); (5,2,1,0:vw1); (5,3,1,0:vw1); (5,4,1,0:vw1); (5,5,1,0:vw1); (5,0,2,0:vw1); (5,1,2,0:vw1); (5,2,2,0:vw1); (5,3,2,0:vw1); (5,4,2,0:vw1); (5,5,2,0:vw1); (5,0,3,0:vw1); (5,1,3,0:vw1); (5,2,3,0:vw1); (5,3,3,0:vw1); (5,4,3,0:vw1); (5,5,3,0:vw1); (6,0,0,0:vw1); (6,1,0,0:vw1); (6,2,0,0:vw1); (6,3,0,0:vw1); (6,4,0,0:vw1); (6,5,0,0:vw1); (6,0,1,0:vw1); (6,1,1,0:vw1); (6,2,1,0:vw1); (6,3,1,0:vw1); (6,4,1,0:vw1); (6,5,1,0:vw1); (6,0,2,0:vw1); (6,1,2,0:vw1); (6,2,2,0:vw1); (6,3,2,0:vw1); (6,4,2,0:vw1); (6,5,2,0:vw1); (6,0,3,0:vw1); (6,1,3,0:vw1); (6,2,3,0:vw1); (6,3,3,0:vw1); (6,4,3,0:vw1); (6,5,3,0:vw1); (7,0,0,0:vw1); (7,1,0,0:vw1); (7,2,0,0:vw1); (7,3,0,0:vw1); (7,4,0,0:vw1); (7,5,0,0:vw1); (7,0,1,0:vw1); (7,1,1,0:vw1); (7,2,1,0:vw1); (7,3,1,0:vw1); (7,4,1,0:vw1); (7,5,1,0:vw1); (7,0,2,0:vw1); (7,1,2,0:vw1); (7,2,2,0:vw1); (7,3,2,0:vw1); (7,4,2,0:vw1); (7,5,2,0:vw1); (7,0,3,0:vw1); (7,1,3,0:vw1); (7,2,3,0:vw1); (7,3,3,0:vw1); (7,4,3,0:vw1); (7,5,3,0:vw1) */
/******************************************/

/* calc coords, apply mask, and issue loads (if necessary) */
/* (d1,vc1,d0,vc0)=(5,0,0,0) */
_v_add_co_u32 v1, vcc, v1, 29                      // coord1.1: coord1Vgpr += d1*sg1*VW + vc1

/* Fix for UseInitialStridesCD, emitAddressSetupCode */
s_mul_i32 s52, s[sgprStrideC1J], 29                // scale stride
_v_add_u32 v2, v2, s52                             // ROWINC- Move cinRowPtr to next row
s_mul_i32 s52, s[sgprStrideD1J], 29                // scale stride
_v_add_u32 v3, v3, s52                             // Move coutRowPtr to next row
v_cmp_lt_u32 s[52:53], v0, s[sgprSizeI]            // coord0 < size0
v_cmp_lt_u32 s[56:57], v1, s[sgprSizeJ]            // coord1 < size1
s_and_b64 s[56:57], s[52:53], s[56:57]             // in0 && in1
_v_add_lshl_u32 v10, v3, v0, 0x1                   // scaleToBpe: accumulate d0 lower and *= bpe into Cin addr
v_cndmask_b32 v10, -1, v10, s[56:57]               // LDD clip if OOB. offset
/* (d1,vc1,d0,vc0)=(5,0,1,0) */
_v_add_co_u32 v4, vcc, v0, 32                      // coord0.1: coord0 += d0*sg0*VW + vc0
v_cmp_lt_u32 s[52:53], v4, s[sgprSizeI]            // coord0 < size0
v_cmp_lt_u32 s[56:57], v1, s[sgprSizeJ]            // coord1 < size1
s_and_b64 s[56:57], s[52:53], s[56:57]             // in0 && in1
_v_add_lshl_u32 v12, v3, v4, 0x1                   // scaleToBpe: accumulate d0 lower and *= bpe into Cin addr
v_cndmask_b32 v12, -1, v12, s[56:57]               // LDD clip if OOB. offset
/* (d1,vc1,d0,vc0)=(5,0,2,0) */
_v_add_co_u32 v4, vcc, v0, 64                      // coord0.1: coord0 += d0*sg0*VW + vc0
v_cmp_lt_u32 s[52:53], v4, s[sgprSizeI]            // coord0 < size0
v_cmp_lt_u32 s[56:57], v1, s[sgprSizeJ]            // coord1 < size1
s_and_b64 s[56:57], s[52:53], s[56:57]             // in0 && in1
_v_add_lshl_u32 v14, v3, v4, 0x1                   // scaleToBpe: accumulate d0 lower and *= bpe into Cin addr
v_cndmask_b32 v14, -1, v14, s[56:57]               // LDD clip if OOB. offset
/* (d1,vc1,d0,vc0)=(5,0,3,0) */
s_mov_b32 s52, 96                                  // coordOffset0 d0=3 vc0=0
_v_add_co_u32 v4, vcc, v0, s52                     // coord0.2: coord0 += d0*sg0*VW + vc0
v_cmp_lt_u32 s[52:53], v4, s[sgprSizeI]            // coord0 < size0
v_cmp_lt_u32 s[56:57], v1, s[sgprSizeJ]            // coord1 < size1
s_and_b64 s[56:57], s[52:53], s[56:57]             // in0 && in1
_v_add_lshl_u32 v16, v3, v4, 0x1                   // scaleToBpe: accumulate d0 lower and *= bpe into Cin addr
v_cndmask_b32 v16, -1, v16, s[56:57]               // LDD clip if OOB. offset
/* (d1,vc1,d0,vc0)=(5,0,4,0) */
s_mov_b32 s52, 128                                 // coordOffset0 d0=4 vc0=0
_v_add_co_u32 v4, vcc, v0, s52                     // coord0.2: coord0 += d0*sg0*VW + vc0
v_cmp_lt_u32 s[52:53], v4, s[sgprSizeI]            // coord0 < size0
v_cmp_lt_u32 s[56:57], v1, s[sgprSizeJ]            // coord1 < size1
s_and_b64 s[56:57], s[52:53], s[56:57]             // in0 && in1
_v_add_lshl_u32 v18, v3, v4, 0x1                   // scaleToBpe: accumulate d0 lower and *= bpe into Cin addr
v_cndmask_b32 v18, -1, v18, s[56:57]               // LDD clip if OOB. offset
/* (d1,vc1,d0,vc0)=(5,0,5,0) */
s_mov_b32 s52, 160                                 // coordOffset0 d0=5 vc0=0
_v_add_co_u32 v4, vcc, v0, s52                     // coord0.2: coord0 += d0*sg0*VW + vc0
v_cmp_lt_u32 s[52:53], v4, s[sgprSizeI]            // coord0 < size0
v_cmp_lt_u32 s[56:57], v1, s[sgprSizeJ]            // coord1 < size1
s_and_b64 s[56:57], s[52:53], s[56:57]             // in0 && in1
_v_add_lshl_u32 v20, v3, v4, 0x1                   // scaleToBpe: accumulate d0 lower and *= bpe into Cin addr
v_cndmask_b32 v20, -1, v20, s[56:57]               // LDD clip if OOB. offset
/* (d1,vc1,d0,vc0)=(5,1,0,0) */
_v_add_co_u32 v1, vcc, v1, 1                       // coord1.1: coord1Vgpr += d1*sg1*VW + vc1

/* Fix for UseInitialStridesCD, emitAddressSetupCode */
_v_add_u32 v2, v2, s[sgprStrideC1J]                // ROWINC- Move cinRowPtr to next row
_v_add_u32 v3, v3, s[sgprStrideD1J]                // Move coutRowPtr to next row
v_cmp_lt_u32 s[52:53], v0, s[sgprSizeI]            // coord0 < size0
v_cmp_lt_u32 s[56:57], v1, s[sgprSizeJ]            // coord1 < size1
s_and_b64 s[56:57], s[52:53], s[56:57]             // in0 && in1
_v_add_lshl_u32 v22, v3, v0, 0x1                   // scaleToBpe: accumulate d0 lower and *= bpe into Cin addr
v_cndmask_b32 v22, -1, v22, s[56:57]               // LDD clip if OOB. offset
/* (d1,vc1,d0,vc0)=(5,1,1,0) */
_v_add_co_u32 v4, vcc, v0, 32                      // coord0.1: coord0 += d0*sg0*VW + vc0
v_cmp_lt_u32 s[52:53], v4, s[sgprSizeI]            // coord0 < size0
v_cmp_lt_u32 s[56:57], v1, s[sgprSizeJ]            // coord1 < size1
s_and_b64 s[56:57], s[52:53], s[56:57]             // in0 && in1
_v_add_lshl_u32 v24, v3, v4, 0x1                   // scaleToBpe: accumulate d0 lower and *= bpe into Cin addr
v_cndmask_b32 v24, -1, v24, s[56:57]               // LDD clip if OOB. offset
/* (d1,vc1,d0,vc0)=(5,1,2,0) */
_v_add_co_u32 v4, vcc, v0, 64                      // coord0.1: coord0 += d0*sg0*VW + vc0
v_cmp_lt_u32 s[52:53], v4, s[sgprSizeI]            // coord0 < size0
v_cmp_lt_u32 s[56:57], v1, s[sgprSizeJ]            // coord1 < size1
s_and_b64 s[56:57], s[52:53], s[56:57]             // in0 && in1
_v_add_lshl_u32 v26, v3, v4, 0x1                   // scaleToBpe: accumulate d0 lower and *= bpe into Cin addr
v_cndmask_b32 v26, -1, v26, s[56:57]               // LDD clip if OOB. offset
/* (d1,vc1,d0,vc0)=(5,1,3,0) */
s_mov_b32 s52, 96                                  // coordOffset0 d0=3 vc0=0
_v_add_co_u32 v4, vcc, v0, s52                     // coord0.2: coord0 += d0*sg0*VW + vc0
v_cmp_lt_u32 s[52:53], v4, s[sgprSizeI]            // coord0 < size0
v_cmp_lt_u32 s[56:57], v1, s[sgprSizeJ]            // coord1 < size1
s_and_b64 s[56:57], s[52:53], s[56:57]             // in0 && in1
_v_add_lshl_u32 v28, v3, v4, 0x1                   // scaleToBpe: accumulate d0 lower and *= bpe into Cin addr
v_cndmask_b32 v28, -1, v28, s[56:57]               // LDD clip if OOB. offset
/* (d1,vc1,d0,vc0)=(5,1,4,0) */
s_mov_b32 s52, 128                                 // coordOffset0 d0=4 vc0=0
_v_add_co_u32 v4, vcc, v0, s52                     // coord0.2: coord0 += d0*sg0*VW + vc0
v_cmp_lt_u32 s[52:53], v4, s[sgprSizeI]            // coord0 < size0
v_cmp_lt_u32 s[56:57], v1, s[sgprSizeJ]            // coord1 < size1
s_and_b64 s[56:57], s[52:53], s[56:57]             // in0 && in1
_v_add_lshl_u32 v30, v3, v4, 0x1                   // scaleToBpe: accumulate d0 lower and *= bpe into Cin addr
v_cndmask_b32 v30, -1, v30, s[56:57]               // LDD clip if OOB. offset
/* (d1,vc1,d0,vc0)=(5,1,5,0) */
s_mov_b32 s52, 160                                 // coordOffset0 d0=5 vc0=0
_v_add_co_u32 v4, vcc, v0, s52                     // coord0.2: coord0 += d0*sg0*VW + vc0
v_cmp_lt_u32 s[52:53], v4, s[sgprSizeI]            // coord0 < size0
v_cmp_lt_u32 s[56:57], v1, s[sgprSizeJ]            // coord1 < size1
s_and_b64 s[56:57], s[52:53], s[56:57]             // in0 && in1
_v_add_lshl_u32 v32, v3, v4, 0x1                   // scaleToBpe: accumulate d0 lower and *= bpe into Cin addr
v_cndmask_b32 v32, -1, v32, s[56:57]               // LDD clip if OOB. offset
/* (d1,vc1,d0,vc0)=(5,2,0,0) */
_v_add_co_u32 v1, vcc, v1, 1                       // coord1.1: coord1Vgpr += d1*sg1*VW + vc1

/* Fix for UseInitialStridesCD, emitAddressSetupCode */
_v_add_u32 v2, v2, s[sgprStrideC1J]                // ROWINC- Move cinRowPtr to next row
_v_add_u32 v3, v3, s[sgprStrideD1J]                // Move coutRowPtr to next row
	;; [unrolled: 49-line block ×3, first 2 shown]
v_cmp_lt_u32 s[52:53], v0, s[sgprSizeI]            // coord0 < size0
v_cmp_lt_u32 s[56:57], v1, s[sgprSizeJ]            // coord1 < size1
s_and_b64 s[56:57], s[52:53], s[56:57]             // in0 && in1
_v_add_lshl_u32 v46, v3, v0, 0x1                   // scaleToBpe: accumulate d0 lower and *= bpe into Cin addr
v_cndmask_b32 v46, -1, v46, s[56:57]               // LDD clip if OOB. offset
/* (d1,vc1,d0,vc0)=(5,3,1,0) */
_v_add_co_u32 v4, vcc, v0, 32                      // coord0.1: coord0 += d0*sg0*VW + vc0
v_cmp_lt_u32 s[52:53], v4, s[sgprSizeI]            // coord0 < size0
v_cmp_lt_u32 s[56:57], v1, s[sgprSizeJ]            // coord1 < size1
s_and_b64 s[56:57], s[52:53], s[56:57]             // in0 && in1
_v_add_lshl_u32 v48, v3, v4, 0x1                   // scaleToBpe: accumulate d0 lower and *= bpe into Cin addr
v_cndmask_b32 v48, -1, v48, s[56:57]               // LDD clip if OOB. offset
/* (d1,vc1,d0,vc0)=(5,3,2,0) */
_v_add_co_u32 v4, vcc, v0, 64                      // coord0.1: coord0 += d0*sg0*VW + vc0
v_cmp_lt_u32 s[52:53], v4, s[sgprSizeI]            // coord0 < size0
v_cmp_lt_u32 s[56:57], v1, s[sgprSizeJ]            // coord1 < size1
s_and_b64 s[56:57], s[52:53], s[56:57]             // in0 && in1
_v_add_lshl_u32 v50, v3, v4, 0x1                   // scaleToBpe: accumulate d0 lower and *= bpe into Cin addr
v_cndmask_b32 v50, -1, v50, s[56:57]               // LDD clip if OOB. offset
/* (d1,vc1,d0,vc0)=(5,3,3,0) */
s_mov_b32 s52, 96                                  // coordOffset0 d0=3 vc0=0
_v_add_co_u32 v4, vcc, v0, s52                     // coord0.2: coord0 += d0*sg0*VW + vc0
v_cmp_lt_u32 s[52:53], v4, s[sgprSizeI]            // coord0 < size0
v_cmp_lt_u32 s[56:57], v1, s[sgprSizeJ]            // coord1 < size1
s_and_b64 s[56:57], s[52:53], s[56:57]             // in0 && in1
_v_add_lshl_u32 v52, v3, v4, 0x1                   // scaleToBpe: accumulate d0 lower and *= bpe into Cin addr
v_cndmask_b32 v52, -1, v52, s[56:57]               // LDD clip if OOB. offset
/* (d1,vc1,d0,vc0)=(5,3,4,0) */
s_mov_b32 s52, 128                                 // coordOffset0 d0=4 vc0=0
_v_add_co_u32 v4, vcc, v0, s52                     // coord0.2: coord0 += d0*sg0*VW + vc0
v_cmp_lt_u32 s[52:53], v4, s[sgprSizeI]            // coord0 < size0
v_cmp_lt_u32 s[56:57], v1, s[sgprSizeJ]            // coord1 < size1
s_and_b64 s[56:57], s[52:53], s[56:57]             // in0 && in1
_v_add_lshl_u32 v54, v3, v4, 0x1                   // scaleToBpe: accumulate d0 lower and *= bpe into Cin addr
v_cndmask_b32 v54, -1, v54, s[56:57]               // LDD clip if OOB. offset
/* (d1,vc1,d0,vc0)=(5,3,5,0) */
s_mov_b32 s52, 160                                 // coordOffset0 d0=5 vc0=0
_v_add_co_u32 v4, vcc, v0, s52                     // coord0.2: coord0 += d0*sg0*VW + vc0
v_cmp_lt_u32 s[52:53], v4, s[sgprSizeI]            // coord0 < size0
v_cmp_lt_u32 s[56:57], v1, s[sgprSizeJ]            // coord1 < size1
s_and_b64 s[56:57], s[52:53], s[56:57]             // in0 && in1
_v_add_lshl_u32 v56, v3, v4, 0x1                   // scaleToBpe: accumulate d0 lower and *= bpe into Cin addr
v_cndmask_b32 v56, -1, v56, s[56:57]               // LDD clip if OOB. offset
/* (d1,vc1,d0,vc0)=(6,0,0,0) */
_v_add_co_u32 v1, vcc, v1, 29                      // coord1.1: coord1Vgpr += d1*sg1*VW + vc1

/* Fix for UseInitialStridesCD, emitAddressSetupCode */
s_mul_i32 s52, s[sgprStrideC1J], 29                // scale stride
_v_add_u32 v2, v2, s52                             // ROWINC- Move cinRowPtr to next row
s_mul_i32 s52, s[sgprStrideD1J], 29                // scale stride
_v_add_u32 v3, v3, s52                             // Move coutRowPtr to next row
v_cmp_lt_u32 s[52:53], v0, s[sgprSizeI]            // coord0 < size0
v_cmp_lt_u32 s[56:57], v1, s[sgprSizeJ]            // coord1 < size1
s_and_b64 s[56:57], s[52:53], s[56:57]             // in0 && in1
_v_add_lshl_u32 v58, v3, v0, 0x1                   // scaleToBpe: accumulate d0 lower and *= bpe into Cin addr
v_cndmask_b32 v58, -1, v58, s[56:57]               // LDD clip if OOB. offset
/* (d1,vc1,d0,vc0)=(6,0,1,0) */
_v_add_co_u32 v4, vcc, v0, 32                      // coord0.1: coord0 += d0*sg0*VW + vc0
v_cmp_lt_u32 s[52:53], v4, s[sgprSizeI]            // coord0 < size0
v_cmp_lt_u32 s[56:57], v1, s[sgprSizeJ]            // coord1 < size1
s_and_b64 s[56:57], s[52:53], s[56:57]             // in0 && in1
_v_add_lshl_u32 v60, v3, v4, 0x1                   // scaleToBpe: accumulate d0 lower and *= bpe into Cin addr
v_cndmask_b32 v60, -1, v60, s[56:57]               // LDD clip if OOB. offset
/* (d1,vc1,d0,vc0)=(6,0,2,0) */
_v_add_co_u32 v4, vcc, v0, 64                      // coord0.1: coord0 += d0*sg0*VW + vc0
v_cmp_lt_u32 s[52:53], v4, s[sgprSizeI]            // coord0 < size0
v_cmp_lt_u32 s[56:57], v1, s[sgprSizeJ]            // coord1 < size1
s_and_b64 s[56:57], s[52:53], s[56:57]             // in0 && in1
_v_add_lshl_u32 v62, v3, v4, 0x1                   // scaleToBpe: accumulate d0 lower and *= bpe into Cin addr
v_cndmask_b32 v62, -1, v62, s[56:57]               // LDD clip if OOB. offset
/* (d1,vc1,d0,vc0)=(6,0,3,0) */
s_mov_b32 s52, 96                                  // coordOffset0 d0=3 vc0=0
_v_add_co_u32 v4, vcc, v0, s52                     // coord0.2: coord0 += d0*sg0*VW + vc0
v_cmp_lt_u32 s[52:53], v4, s[sgprSizeI]            // coord0 < size0
v_cmp_lt_u32 s[56:57], v1, s[sgprSizeJ]            // coord1 < size1
s_and_b64 s[56:57], s[52:53], s[56:57]             // in0 && in1
_v_add_lshl_u32 v64, v3, v4, 0x1                   // scaleToBpe: accumulate d0 lower and *= bpe into Cin addr
v_cndmask_b32 v64, -1, v64, s[56:57]               // LDD clip if OOB. offset
/* (d1,vc1,d0,vc0)=(6,0,4,0) */
s_mov_b32 s52, 128                                 // coordOffset0 d0=4 vc0=0
_v_add_co_u32 v4, vcc, v0, s52                     // coord0.2: coord0 += d0*sg0*VW + vc0
v_cmp_lt_u32 s[52:53], v4, s[sgprSizeI]            // coord0 < size0
v_cmp_lt_u32 s[56:57], v1, s[sgprSizeJ]            // coord1 < size1
s_and_b64 s[56:57], s[52:53], s[56:57]             // in0 && in1
_v_add_lshl_u32 v66, v3, v4, 0x1                   // scaleToBpe: accumulate d0 lower and *= bpe into Cin addr
v_cndmask_b32 v66, -1, v66, s[56:57]               // LDD clip if OOB. offset
/* (d1,vc1,d0,vc0)=(6,0,5,0) */
s_mov_b32 s52, 160                                 // coordOffset0 d0=5 vc0=0
_v_add_co_u32 v4, vcc, v0, s52                     // coord0.2: coord0 += d0*sg0*VW + vc0
v_cmp_lt_u32 s[52:53], v4, s[sgprSizeI]            // coord0 < size0
v_cmp_lt_u32 s[56:57], v1, s[sgprSizeJ]            // coord1 < size1
s_and_b64 s[56:57], s[52:53], s[56:57]             // in0 && in1
_v_add_lshl_u32 v68, v3, v4, 0x1                   // scaleToBpe: accumulate d0 lower and *= bpe into Cin addr
v_cndmask_b32 v68, -1, v68, s[56:57]               // LDD clip if OOB. offset
/* (d1,vc1,d0,vc0)=(6,1,0,0) */
_v_add_co_u32 v1, vcc, v1, 1                       // coord1.1: coord1Vgpr += d1*sg1*VW + vc1

/* Fix for UseInitialStridesCD, emitAddressSetupCode */
_v_add_u32 v2, v2, s[sgprStrideC1J]                // ROWINC- Move cinRowPtr to next row
_v_add_u32 v3, v3, s[sgprStrideD1J]                // Move coutRowPtr to next row
v_cmp_lt_u32 s[52:53], v0, s[sgprSizeI]            // coord0 < size0
v_cmp_lt_u32 s[56:57], v1, s[sgprSizeJ]            // coord1 < size1
s_and_b64 s[56:57], s[52:53], s[56:57]             // in0 && in1
_v_add_lshl_u32 v70, v3, v0, 0x1                   // scaleToBpe: accumulate d0 lower and *= bpe into Cin addr
v_cndmask_b32 v70, -1, v70, s[56:57]               // LDD clip if OOB. offset
/* (d1,vc1,d0,vc0)=(6,1,1,0) */
_v_add_co_u32 v4, vcc, v0, 32                      // coord0.1: coord0 += d0*sg0*VW + vc0
v_cmp_lt_u32 s[52:53], v4, s[sgprSizeI]            // coord0 < size0
v_cmp_lt_u32 s[56:57], v1, s[sgprSizeJ]            // coord1 < size1
s_and_b64 s[56:57], s[52:53], s[56:57]             // in0 && in1
_v_add_lshl_u32 v72, v3, v4, 0x1                   // scaleToBpe: accumulate d0 lower and *= bpe into Cin addr
v_cndmask_b32 v72, -1, v72, s[56:57]               // LDD clip if OOB. offset
/* (d1,vc1,d0,vc0)=(6,1,2,0) */
_v_add_co_u32 v4, vcc, v0, 64                      // coord0.1: coord0 += d0*sg0*VW + vc0
v_cmp_lt_u32 s[52:53], v4, s[sgprSizeI]            // coord0 < size0
v_cmp_lt_u32 s[56:57], v1, s[sgprSizeJ]            // coord1 < size1
s_and_b64 s[56:57], s[52:53], s[56:57]             // in0 && in1
_v_add_lshl_u32 v74, v3, v4, 0x1                   // scaleToBpe: accumulate d0 lower and *= bpe into Cin addr
v_cndmask_b32 v74, -1, v74, s[56:57]               // LDD clip if OOB. offset
/* (d1,vc1,d0,vc0)=(6,1,3,0) */
s_mov_b32 s52, 96                                  // coordOffset0 d0=3 vc0=0
_v_add_co_u32 v4, vcc, v0, s52                     // coord0.2: coord0 += d0*sg0*VW + vc0
v_cmp_lt_u32 s[52:53], v4, s[sgprSizeI]            // coord0 < size0
v_cmp_lt_u32 s[56:57], v1, s[sgprSizeJ]            // coord1 < size1
s_and_b64 s[56:57], s[52:53], s[56:57]             // in0 && in1
_v_add_lshl_u32 v76, v3, v4, 0x1                   // scaleToBpe: accumulate d0 lower and *= bpe into Cin addr
v_cndmask_b32 v76, -1, v76, s[56:57]               // LDD clip if OOB. offset
/* (d1,vc1,d0,vc0)=(6,1,4,0) */
s_mov_b32 s52, 128                                 // coordOffset0 d0=4 vc0=0
_v_add_co_u32 v4, vcc, v0, s52                     // coord0.2: coord0 += d0*sg0*VW + vc0
v_cmp_lt_u32 s[52:53], v4, s[sgprSizeI]            // coord0 < size0
v_cmp_lt_u32 s[56:57], v1, s[sgprSizeJ]            // coord1 < size1
s_and_b64 s[56:57], s[52:53], s[56:57]             // in0 && in1
_v_add_lshl_u32 v78, v3, v4, 0x1                   // scaleToBpe: accumulate d0 lower and *= bpe into Cin addr
v_cndmask_b32 v78, -1, v78, s[56:57]               // LDD clip if OOB. offset
/* (d1,vc1,d0,vc0)=(6,1,5,0) */
s_mov_b32 s52, 160                                 // coordOffset0 d0=5 vc0=0
_v_add_co_u32 v4, vcc, v0, s52                     // coord0.2: coord0 += d0*sg0*VW + vc0
v_cmp_lt_u32 s[52:53], v4, s[sgprSizeI]            // coord0 < size0
v_cmp_lt_u32 s[56:57], v1, s[sgprSizeJ]            // coord1 < size1
s_and_b64 s[56:57], s[52:53], s[56:57]             // in0 && in1
_v_add_lshl_u32 v80, v3, v4, 0x1                   // scaleToBpe: accumulate d0 lower and *= bpe into Cin addr
v_cndmask_b32 v80, -1, v80, s[56:57]               // LDD clip if OOB. offset
/* (d1,vc1,d0,vc0)=(6,2,0,0) */
_v_add_co_u32 v1, vcc, v1, 1                       // coord1.1: coord1Vgpr += d1*sg1*VW + vc1

/* Fix for UseInitialStridesCD, emitAddressSetupCode */
_v_add_u32 v2, v2, s[sgprStrideC1J]                // ROWINC- Move cinRowPtr to next row
_v_add_u32 v3, v3, s[sgprStrideD1J]                // Move coutRowPtr to next row
	;; [unrolled: 49-line block ×3, first 2 shown]
v_cmp_lt_u32 s[52:53], v0, s[sgprSizeI]            // coord0 < size0
v_cmp_lt_u32 s[56:57], v1, s[sgprSizeJ]            // coord1 < size1
s_and_b64 s[56:57], s[52:53], s[56:57]             // in0 && in1
_v_add_lshl_u32 v94, v3, v0, 0x1                   // scaleToBpe: accumulate d0 lower and *= bpe into Cin addr
v_cndmask_b32 v94, -1, v94, s[56:57]               // LDD clip if OOB. offset
/* (d1,vc1,d0,vc0)=(6,3,1,0) */
_v_add_co_u32 v4, vcc, v0, 32                      // coord0.1: coord0 += d0*sg0*VW + vc0
v_cmp_lt_u32 s[52:53], v4, s[sgprSizeI]            // coord0 < size0
v_cmp_lt_u32 s[56:57], v1, s[sgprSizeJ]            // coord1 < size1
s_and_b64 s[56:57], s[52:53], s[56:57]             // in0 && in1
_v_add_lshl_u32 v96, v3, v4, 0x1                   // scaleToBpe: accumulate d0 lower and *= bpe into Cin addr
v_cndmask_b32 v96, -1, v96, s[56:57]               // LDD clip if OOB. offset
/* (d1,vc1,d0,vc0)=(6,3,2,0) */
_v_add_co_u32 v4, vcc, v0, 64                      // coord0.1: coord0 += d0*sg0*VW + vc0
v_cmp_lt_u32 s[52:53], v4, s[sgprSizeI]            // coord0 < size0
v_cmp_lt_u32 s[56:57], v1, s[sgprSizeJ]            // coord1 < size1
s_and_b64 s[56:57], s[52:53], s[56:57]             // in0 && in1
_v_add_lshl_u32 v98, v3, v4, 0x1                   // scaleToBpe: accumulate d0 lower and *= bpe into Cin addr
v_cndmask_b32 v98, -1, v98, s[56:57]               // LDD clip if OOB. offset
/* (d1,vc1,d0,vc0)=(6,3,3,0) */
s_mov_b32 s52, 96                                  // coordOffset0 d0=3 vc0=0
_v_add_co_u32 v4, vcc, v0, s52                     // coord0.2: coord0 += d0*sg0*VW + vc0
v_cmp_lt_u32 s[52:53], v4, s[sgprSizeI]            // coord0 < size0
v_cmp_lt_u32 s[56:57], v1, s[sgprSizeJ]            // coord1 < size1
s_and_b64 s[56:57], s[52:53], s[56:57]             // in0 && in1
_v_add_lshl_u32 v100, v3, v4, 0x1                  // scaleToBpe: accumulate d0 lower and *= bpe into Cin addr
v_cndmask_b32 v100, -1, v100, s[56:57]             // LDD clip if OOB. offset
/* (d1,vc1,d0,vc0)=(6,3,4,0) */
s_mov_b32 s52, 128                                 // coordOffset0 d0=4 vc0=0
_v_add_co_u32 v4, vcc, v0, s52                     // coord0.2: coord0 += d0*sg0*VW + vc0
v_cmp_lt_u32 s[52:53], v4, s[sgprSizeI]            // coord0 < size0
v_cmp_lt_u32 s[56:57], v1, s[sgprSizeJ]            // coord1 < size1
s_and_b64 s[56:57], s[52:53], s[56:57]             // in0 && in1
_v_add_lshl_u32 v102, v3, v4, 0x1                  // scaleToBpe: accumulate d0 lower and *= bpe into Cin addr
v_cndmask_b32 v102, -1, v102, s[56:57]             // LDD clip if OOB. offset
/* (d1,vc1,d0,vc0)=(6,3,5,0) */
s_mov_b32 s52, 160                                 // coordOffset0 d0=5 vc0=0
_v_add_co_u32 v4, vcc, v0, s52                     // coord0.2: coord0 += d0*sg0*VW + vc0
v_cmp_lt_u32 s[52:53], v4, s[sgprSizeI]            // coord0 < size0
v_cmp_lt_u32 s[56:57], v1, s[sgprSizeJ]            // coord1 < size1
s_and_b64 s[56:57], s[52:53], s[56:57]             // in0 && in1
_v_add_lshl_u32 v104, v3, v4, 0x1                  // scaleToBpe: accumulate d0 lower and *= bpe into Cin addr
v_cndmask_b32 v104, -1, v104, s[56:57]             // LDD clip if OOB. offset
/* (d1,vc1,d0,vc0)=(7,0,0,0) */
_v_add_co_u32 v1, vcc, v1, 29                      // coord1.1: coord1Vgpr += d1*sg1*VW + vc1

/* Fix for UseInitialStridesCD, emitAddressSetupCode */
s_mul_i32 s52, s[sgprStrideC1J], 29                // scale stride
_v_add_u32 v2, v2, s52                             // ROWINC- Move cinRowPtr to next row
s_mul_i32 s52, s[sgprStrideD1J], 29                // scale stride
_v_add_u32 v3, v3, s52                             // Move coutRowPtr to next row
v_cmp_lt_u32 s[52:53], v0, s[sgprSizeI]            // coord0 < size0
v_cmp_lt_u32 s[56:57], v1, s[sgprSizeJ]            // coord1 < size1
s_and_b64 s[56:57], s[52:53], s[56:57]             // in0 && in1
_v_add_lshl_u32 v106, v3, v0, 0x1                  // scaleToBpe: accumulate d0 lower and *= bpe into Cin addr
v_cndmask_b32 v106, -1, v106, s[56:57]             // LDD clip if OOB. offset
/* (d1,vc1,d0,vc0)=(7,0,1,0) */
_v_add_co_u32 v4, vcc, v0, 32                      // coord0.1: coord0 += d0*sg0*VW + vc0
v_cmp_lt_u32 s[52:53], v4, s[sgprSizeI]            // coord0 < size0
v_cmp_lt_u32 s[56:57], v1, s[sgprSizeJ]            // coord1 < size1
s_and_b64 s[56:57], s[52:53], s[56:57]             // in0 && in1
_v_add_lshl_u32 v108, v3, v4, 0x1                  // scaleToBpe: accumulate d0 lower and *= bpe into Cin addr
v_cndmask_b32 v108, -1, v108, s[56:57]             // LDD clip if OOB. offset
/* (d1,vc1,d0,vc0)=(7,0,2,0) */
_v_add_co_u32 v4, vcc, v0, 64                      // coord0.1: coord0 += d0*sg0*VW + vc0
v_cmp_lt_u32 s[52:53], v4, s[sgprSizeI]            // coord0 < size0
v_cmp_lt_u32 s[56:57], v1, s[sgprSizeJ]            // coord1 < size1
s_and_b64 s[56:57], s[52:53], s[56:57]             // in0 && in1
_v_add_lshl_u32 v110, v3, v4, 0x1                  // scaleToBpe: accumulate d0 lower and *= bpe into Cin addr
v_cndmask_b32 v110, -1, v110, s[56:57]             // LDD clip if OOB. offset
/* (d1,vc1,d0,vc0)=(7,0,3,0) */
s_mov_b32 s52, 96                                  // coordOffset0 d0=3 vc0=0
_v_add_co_u32 v4, vcc, v0, s52                     // coord0.2: coord0 += d0*sg0*VW + vc0
v_cmp_lt_u32 s[52:53], v4, s[sgprSizeI]            // coord0 < size0
v_cmp_lt_u32 s[56:57], v1, s[sgprSizeJ]            // coord1 < size1
s_and_b64 s[56:57], s[52:53], s[56:57]             // in0 && in1
_v_add_lshl_u32 v112, v3, v4, 0x1                  // scaleToBpe: accumulate d0 lower and *= bpe into Cin addr
v_cndmask_b32 v112, -1, v112, s[56:57]             // LDD clip if OOB. offset
/* (d1,vc1,d0,vc0)=(7,0,4,0) */
s_mov_b32 s52, 128                                 // coordOffset0 d0=4 vc0=0
_v_add_co_u32 v4, vcc, v0, s52                     // coord0.2: coord0 += d0*sg0*VW + vc0
v_cmp_lt_u32 s[52:53], v4, s[sgprSizeI]            // coord0 < size0
v_cmp_lt_u32 s[56:57], v1, s[sgprSizeJ]            // coord1 < size1
s_and_b64 s[56:57], s[52:53], s[56:57]             // in0 && in1
_v_add_lshl_u32 v114, v3, v4, 0x1                  // scaleToBpe: accumulate d0 lower and *= bpe into Cin addr
v_cndmask_b32 v114, -1, v114, s[56:57]             // LDD clip if OOB. offset
/* (d1,vc1,d0,vc0)=(7,0,5,0) */
s_mov_b32 s52, 160                                 // coordOffset0 d0=5 vc0=0
_v_add_co_u32 v4, vcc, v0, s52                     // coord0.2: coord0 += d0*sg0*VW + vc0
v_cmp_lt_u32 s[52:53], v4, s[sgprSizeI]            // coord0 < size0
v_cmp_lt_u32 s[56:57], v1, s[sgprSizeJ]            // coord1 < size1
s_and_b64 s[56:57], s[52:53], s[56:57]             // in0 && in1
_v_add_lshl_u32 v116, v3, v4, 0x1                  // scaleToBpe: accumulate d0 lower and *= bpe into Cin addr
v_cndmask_b32 v116, -1, v116, s[56:57]             // LDD clip if OOB. offset
/* (d1,vc1,d0,vc0)=(7,1,0,0) */
_v_add_co_u32 v1, vcc, v1, 1                       // coord1.1: coord1Vgpr += d1*sg1*VW + vc1

/* Fix for UseInitialStridesCD, emitAddressSetupCode */
_v_add_u32 v2, v2, s[sgprStrideC1J]                // ROWINC- Move cinRowPtr to next row
_v_add_u32 v3, v3, s[sgprStrideD1J]                // Move coutRowPtr to next row
v_cmp_lt_u32 s[52:53], v0, s[sgprSizeI]            // coord0 < size0
v_cmp_lt_u32 s[56:57], v1, s[sgprSizeJ]            // coord1 < size1
s_and_b64 s[56:57], s[52:53], s[56:57]             // in0 && in1
_v_add_lshl_u32 v118, v3, v0, 0x1                  // scaleToBpe: accumulate d0 lower and *= bpe into Cin addr
v_cndmask_b32 v118, -1, v118, s[56:57]             // LDD clip if OOB. offset
/* (d1,vc1,d0,vc0)=(7,1,1,0) */
_v_add_co_u32 v4, vcc, v0, 32                      // coord0.1: coord0 += d0*sg0*VW + vc0
v_cmp_lt_u32 s[52:53], v4, s[sgprSizeI]            // coord0 < size0
v_cmp_lt_u32 s[56:57], v1, s[sgprSizeJ]            // coord1 < size1
s_and_b64 s[56:57], s[52:53], s[56:57]             // in0 && in1
_v_add_lshl_u32 v120, v3, v4, 0x1                  // scaleToBpe: accumulate d0 lower and *= bpe into Cin addr
v_cndmask_b32 v120, -1, v120, s[56:57]             // LDD clip if OOB. offset
/* (d1,vc1,d0,vc0)=(7,1,2,0) */
_v_add_co_u32 v4, vcc, v0, 64                      // coord0.1: coord0 += d0*sg0*VW + vc0
v_cmp_lt_u32 s[52:53], v4, s[sgprSizeI]            // coord0 < size0
v_cmp_lt_u32 s[56:57], v1, s[sgprSizeJ]            // coord1 < size1
s_and_b64 s[56:57], s[52:53], s[56:57]             // in0 && in1
_v_add_lshl_u32 v122, v3, v4, 0x1                  // scaleToBpe: accumulate d0 lower and *= bpe into Cin addr
v_cndmask_b32 v122, -1, v122, s[56:57]             // LDD clip if OOB. offset
/* (d1,vc1,d0,vc0)=(7,1,3,0) */
s_mov_b32 s52, 96                                  // coordOffset0 d0=3 vc0=0
_v_add_co_u32 v4, vcc, v0, s52                     // coord0.2: coord0 += d0*sg0*VW + vc0
v_cmp_lt_u32 s[52:53], v4, s[sgprSizeI]            // coord0 < size0
v_cmp_lt_u32 s[56:57], v1, s[sgprSizeJ]            // coord1 < size1
s_and_b64 s[56:57], s[52:53], s[56:57]             // in0 && in1
_v_add_lshl_u32 v124, v3, v4, 0x1                  // scaleToBpe: accumulate d0 lower and *= bpe into Cin addr
v_cndmask_b32 v124, -1, v124, s[56:57]             // LDD clip if OOB. offset
/* (d1,vc1,d0,vc0)=(7,1,4,0) */
s_mov_b32 s52, 128                                 // coordOffset0 d0=4 vc0=0
_v_add_co_u32 v4, vcc, v0, s52                     // coord0.2: coord0 += d0*sg0*VW + vc0
v_cmp_lt_u32 s[52:53], v4, s[sgprSizeI]            // coord0 < size0
v_cmp_lt_u32 s[56:57], v1, s[sgprSizeJ]            // coord1 < size1
s_and_b64 s[56:57], s[52:53], s[56:57]             // in0 && in1
_v_add_lshl_u32 v126, v3, v4, 0x1                  // scaleToBpe: accumulate d0 lower and *= bpe into Cin addr
v_cndmask_b32 v126, -1, v126, s[56:57]             // LDD clip if OOB. offset
/* (d1,vc1,d0,vc0)=(7,1,5,0) */
s_mov_b32 s52, 160                                 // coordOffset0 d0=5 vc0=0
_v_add_co_u32 v4, vcc, v0, s52                     // coord0.2: coord0 += d0*sg0*VW + vc0
v_cmp_lt_u32 s[52:53], v4, s[sgprSizeI]            // coord0 < size0
v_cmp_lt_u32 s[56:57], v1, s[sgprSizeJ]            // coord1 < size1
s_and_b64 s[56:57], s[52:53], s[56:57]             // in0 && in1
_v_add_lshl_u32 v128, v3, v4, 0x1                  // scaleToBpe: accumulate d0 lower and *= bpe into Cin addr
v_cndmask_b32 v128, -1, v128, s[56:57]             // LDD clip if OOB. offset
/* (d1,vc1,d0,vc0)=(7,2,0,0) */
_v_add_co_u32 v1, vcc, v1, 1                       // coord1.1: coord1Vgpr += d1*sg1*VW + vc1

/* Fix for UseInitialStridesCD, emitAddressSetupCode */
_v_add_u32 v2, v2, s[sgprStrideC1J]                // ROWINC- Move cinRowPtr to next row
_v_add_u32 v3, v3, s[sgprStrideD1J]                // Move coutRowPtr to next row
	;; [unrolled: 49-line block ×3, first 2 shown]
v_cmp_lt_u32 s[52:53], v0, s[sgprSizeI]            // coord0 < size0
v_cmp_lt_u32 s[56:57], v1, s[sgprSizeJ]            // coord1 < size1
s_and_b64 s[56:57], s[52:53], s[56:57]             // in0 && in1
_v_add_lshl_u32 v142, v3, v0, 0x1                  // scaleToBpe: accumulate d0 lower and *= bpe into Cin addr
v_cndmask_b32 v142, -1, v142, s[56:57]             // LDD clip if OOB. offset
/* (d1,vc1,d0,vc0)=(7,3,1,0) */
_v_add_co_u32 v4, vcc, v0, 32                      // coord0.1: coord0 += d0*sg0*VW + vc0
v_cmp_lt_u32 s[52:53], v4, s[sgprSizeI]            // coord0 < size0
v_cmp_lt_u32 s[56:57], v1, s[sgprSizeJ]            // coord1 < size1
s_and_b64 s[56:57], s[52:53], s[56:57]             // in0 && in1
_v_add_lshl_u32 v144, v3, v4, 0x1                  // scaleToBpe: accumulate d0 lower and *= bpe into Cin addr
v_cndmask_b32 v144, -1, v144, s[56:57]             // LDD clip if OOB. offset
/* (d1,vc1,d0,vc0)=(7,3,2,0) */
_v_add_co_u32 v4, vcc, v0, 64                      // coord0.1: coord0 += d0*sg0*VW + vc0
v_cmp_lt_u32 s[52:53], v4, s[sgprSizeI]            // coord0 < size0
v_cmp_lt_u32 s[56:57], v1, s[sgprSizeJ]            // coord1 < size1
s_and_b64 s[56:57], s[52:53], s[56:57]             // in0 && in1
_v_add_lshl_u32 v146, v3, v4, 0x1                  // scaleToBpe: accumulate d0 lower and *= bpe into Cin addr
v_cndmask_b32 v146, -1, v146, s[56:57]             // LDD clip if OOB. offset
/* (d1,vc1,d0,vc0)=(7,3,3,0) */
s_mov_b32 s52, 96                                  // coordOffset0 d0=3 vc0=0
_v_add_co_u32 v4, vcc, v0, s52                     // coord0.2: coord0 += d0*sg0*VW + vc0
v_cmp_lt_u32 s[52:53], v4, s[sgprSizeI]            // coord0 < size0
v_cmp_lt_u32 s[56:57], v1, s[sgprSizeJ]            // coord1 < size1
s_and_b64 s[56:57], s[52:53], s[56:57]             // in0 && in1
_v_add_lshl_u32 v148, v3, v4, 0x1                  // scaleToBpe: accumulate d0 lower and *= bpe into Cin addr
v_cndmask_b32 v148, -1, v148, s[56:57]             // LDD clip if OOB. offset
/* (d1,vc1,d0,vc0)=(7,3,4,0) */
s_mov_b32 s52, 128                                 // coordOffset0 d0=4 vc0=0
_v_add_co_u32 v4, vcc, v0, s52                     // coord0.2: coord0 += d0*sg0*VW + vc0
v_cmp_lt_u32 s[52:53], v4, s[sgprSizeI]            // coord0 < size0
v_cmp_lt_u32 s[56:57], v1, s[sgprSizeJ]            // coord1 < size1
s_and_b64 s[56:57], s[52:53], s[56:57]             // in0 && in1
_v_add_lshl_u32 v150, v3, v4, 0x1                  // scaleToBpe: accumulate d0 lower and *= bpe into Cin addr
v_cndmask_b32 v150, -1, v150, s[56:57]             // LDD clip if OOB. offset
/* (d1,vc1,d0,vc0)=(7,3,5,0) */
s_mov_b32 s52, 160                                 // coordOffset0 d0=5 vc0=0
_v_add_co_u32 v4, vcc, v0, s52                     // coord0.2: coord0 += d0*sg0*VW + vc0
v_cmp_lt_u32 s[52:53], v4, s[sgprSizeI]            // coord0 < size0
v_cmp_lt_u32 s[56:57], v1, s[sgprSizeJ]            // coord1 < size1
s_and_b64 s[56:57], s[52:53], s[56:57]             // in0 && in1
_v_add_lshl_u32 v152, v3, v4, 0x1                  // scaleToBpe: accumulate d0 lower and *= bpe into Cin addr
v_cndmask_b32 v152, -1, v152, s[56:57]             // LDD clip if OOB. offset
v_accvgpr_read_b32 v[vgprValuC+11], acc120 // copy acc to vreg[120]
v_accvgpr_read_b32 v[vgprValuC+13], acc124 // copy acc to vreg[121]
v_accvgpr_read_b32 v[vgprValuC+15], acc128 // copy acc to vreg[122]
v_accvgpr_read_b32 v[vgprValuC+17], acc132 // copy acc to vreg[123]
v_accvgpr_read_b32 v[vgprValuC+19], acc136 // copy acc to vreg[124]
v_accvgpr_read_b32 v[vgprValuC+21], acc140 // copy acc to vreg[125]
v_accvgpr_read_b32 v[vgprValuC+23], acc121 // copy acc to vreg[126]
v_accvgpr_read_b32 v[vgprValuC+25], acc125 // copy acc to vreg[127]
v_accvgpr_read_b32 v[vgprValuC+27], acc129 // copy acc to vreg[128]
v_accvgpr_read_b32 v[vgprValuC+29], acc133 // copy acc to vreg[129]
v_accvgpr_read_b32 v[vgprValuC+31], acc137 // copy acc to vreg[130]
v_accvgpr_read_b32 v[vgprValuC+33], acc141 // copy acc to vreg[131]
v_accvgpr_read_b32 v[vgprValuC+35], acc122 // copy acc to vreg[132]
v_accvgpr_read_b32 v[vgprValuC+37], acc126 // copy acc to vreg[133]
v_accvgpr_read_b32 v[vgprValuC+39], acc130 // copy acc to vreg[134]
v_accvgpr_read_b32 v[vgprValuC+41], acc134 // copy acc to vreg[135]
v_accvgpr_read_b32 v[vgprValuC+43], acc138 // copy acc to vreg[136]
v_accvgpr_read_b32 v[vgprValuC+45], acc142 // copy acc to vreg[137]
v_accvgpr_read_b32 v[vgprValuC+47], acc123 // copy acc to vreg[138]
v_accvgpr_read_b32 v[vgprValuC+49], acc127 // copy acc to vreg[139]
v_accvgpr_read_b32 v[vgprValuC+51], acc131 // copy acc to vreg[140]
v_accvgpr_read_b32 v[vgprValuC+53], acc135 // copy acc to vreg[141]
v_accvgpr_read_b32 v[vgprValuC+55], acc139 // copy acc to vreg[142]
v_accvgpr_read_b32 v[vgprValuC+57], acc143 // copy acc to vreg[143]
v_accvgpr_read_b32 v[vgprValuC+59], acc144 // copy acc to vreg[144]
v_accvgpr_read_b32 v[vgprValuC+61], acc148 // copy acc to vreg[145]
v_accvgpr_read_b32 v[vgprValuC+63], acc152 // copy acc to vreg[146]
v_accvgpr_read_b32 v[vgprValuC+65], acc156 // copy acc to vreg[147]
v_accvgpr_read_b32 v[vgprValuC+67], acc160 // copy acc to vreg[148]
v_accvgpr_read_b32 v[vgprValuC+69], acc164 // copy acc to vreg[149]
v_accvgpr_read_b32 v[vgprValuC+71], acc145 // copy acc to vreg[150]
v_accvgpr_read_b32 v[vgprValuC+73], acc149 // copy acc to vreg[151]
v_accvgpr_read_b32 v[vgprValuC+75], acc153 // copy acc to vreg[152]
v_accvgpr_read_b32 v[vgprValuC+77], acc157 // copy acc to vreg[153]
v_accvgpr_read_b32 v[vgprValuC+79], acc161 // copy acc to vreg[154]
v_accvgpr_read_b32 v[vgprValuC+81], acc165 // copy acc to vreg[155]
v_accvgpr_read_b32 v[vgprValuC+83], acc146 // copy acc to vreg[156]
v_accvgpr_read_b32 v[vgprValuC+85], acc150 // copy acc to vreg[157]
v_accvgpr_read_b32 v[vgprValuC+87], acc154 // copy acc to vreg[158]
v_accvgpr_read_b32 v[vgprValuC+89], acc158 // copy acc to vreg[159]
v_accvgpr_read_b32 v[vgprValuC+91], acc162 // copy acc to vreg[160]
v_accvgpr_read_b32 v[vgprValuC+93], acc166 // copy acc to vreg[161]
v_accvgpr_read_b32 v[vgprValuC+95], acc147 // copy acc to vreg[162]
v_accvgpr_read_b32 v[vgprValuC+97], acc151 // copy acc to vreg[163]
v_accvgpr_read_b32 v[vgprValuC+99], acc155 // copy acc to vreg[164]
v_accvgpr_read_b32 v[vgprValuC+101], acc159 // copy acc to vreg[165]
v_accvgpr_read_b32 v[vgprValuC+103], acc163 // copy acc to vreg[166]
v_accvgpr_read_b32 v[vgprValuC+105], acc167 // copy acc to vreg[167]
v_accvgpr_read_b32 v[vgprValuC+107], acc168 // copy acc to vreg[168]
v_accvgpr_read_b32 v[vgprValuC+109], acc172 // copy acc to vreg[169]
v_accvgpr_read_b32 v[vgprValuC+111], acc176 // copy acc to vreg[170]
v_accvgpr_read_b32 v[vgprValuC+113], acc180 // copy acc to vreg[171]
v_accvgpr_read_b32 v[vgprValuC+115], acc184 // copy acc to vreg[172]
v_accvgpr_read_b32 v[vgprValuC+117], acc188 // copy acc to vreg[173]
v_accvgpr_read_b32 v[vgprValuC+119], acc169 // copy acc to vreg[174]
v_accvgpr_read_b32 v[vgprValuC+121], acc173 // copy acc to vreg[175]
v_accvgpr_read_b32 v[vgprValuC+123], acc177 // copy acc to vreg[176]
v_accvgpr_read_b32 v[vgprValuC+125], acc181 // copy acc to vreg[177]
v_accvgpr_read_b32 v[vgprValuC+127], acc185 // copy acc to vreg[178]
v_accvgpr_read_b32 v[vgprValuC+129], acc189 // copy acc to vreg[179]
v_accvgpr_read_b32 v[vgprValuC+131], acc170 // copy acc to vreg[180]
v_accvgpr_read_b32 v[vgprValuC+133], acc174 // copy acc to vreg[181]
v_accvgpr_read_b32 v[vgprValuC+135], acc178 // copy acc to vreg[182]
v_accvgpr_read_b32 v[vgprValuC+137], acc182 // copy acc to vreg[183]
v_accvgpr_read_b32 v[vgprValuC+139], acc186 // copy acc to vreg[184]
v_accvgpr_read_b32 v[vgprValuC+141], acc190 // copy acc to vreg[185]
v_accvgpr_read_b32 v[vgprValuC+143], acc171 // copy acc to vreg[186]
v_accvgpr_read_b32 v[vgprValuC+145], acc175 // copy acc to vreg[187]
v_accvgpr_read_b32 v[vgprValuC+147], acc179 // copy acc to vreg[188]
v_accvgpr_read_b32 v[vgprValuC+149], acc183 // copy acc to vreg[189]
v_accvgpr_read_b32 v[vgprValuC+151], acc187 // copy acc to vreg[190]
v_accvgpr_read_b32 v[vgprValuC+153], acc191 // copy acc to vreg[191]
s_nop 1                                            // 2 wait states required before reading vgpr

/* rC *= alpha batchElements=[(5, 0, 0, 0), (5, 1, 0, 0), (5, 2, 0, 0), (5, 3, 0, 0), (5, 4, 0, 0), (5, 5, 0, 0), (5, 0, 1, 0), (5, 1, 1, 0), (5, 2, 1, 0), (5, 3, 1, 0), (5, 4, 1, 0), (5, 5, 1, 0), (5, 0, 2, 0), (5, 1, 2, 0), (5, 2, 2, 0), (5, 3, 2, 0), (5, 4, 2, 0), (5, 5, 2, 0), (5, 0, 3, 0), (5, 1, 3, 0), (5, 2, 3, 0), (5, 3, 3, 0), (5, 4, 3, 0), (5, 5, 3, 0), (6, 0, 0, 0), (6, 1, 0, 0), (6, 2, 0, 0), (6, 3, 0, 0), (6, 4, 0, 0), (6, 5, 0, 0), (6, 0, 1, 0), (6, 1, 1, 0), (6, 2, 1, 0), (6, 3, 1, 0), (6, 4, 1, 0), (6, 5, 1, 0), (6, 0, 2, 0), (6, 1, 2, 0), (6, 2, 2, 0), (6, 3, 2, 0), (6, 4, 2, 0), (6, 5, 2, 0), (6, 0, 3, 0), (6, 1, 3, 0), (6, 2, 3, 0), (6, 3, 3, 0), (6, 4, 3, 0), (6, 5, 3, 0), (7, 0, 0, 0), (7, 1, 0, 0), (7, 2, 0, 0), (7, 3, 0, 0), (7, 4, 0, 0), (7, 5, 0, 0), (7, 0, 1, 0), (7, 1, 1, 0), (7, 2, 1, 0), (7, 3, 1, 0), (7, 4, 1, 0), (7, 5, 1, 0), (7, 0, 2, 0), (7, 1, 2, 0), (7, 2, 2, 0), (7, 3, 2, 0), (7, 4, 2, 0), (7, 5, 2, 0), (7, 0, 3, 0), (7, 1, 3, 0), (7, 2, 3, 0), (7, 3, 3, 0), (7, 4, 3, 0), (7, 5, 3, 0)] */
v_mul_f32 v[vgprValuC+11], s[sgprAlpha], v[vgprValuC+11] // *= alpha
v_mul_f32 v[vgprValuC+13], s[sgprAlpha], v[vgprValuC+13] // *= alpha
	;; [unrolled: 1-line block ×72, first 2 shown]

/* apply mask, calc new C and issue writes */
v_mov_b32 v7, 0xffff0000                           // mask for pack two bfloat16 element to 32bit
v_mov_b32 v8, 0x7fff0000                           // fp32 Nan
v_mov_b32 v9, 0x7fff                               // rounding bias for bfloat16
v_cmp_u_f32 s[52:53], v[vgprValuC+11], v[vgprValuC+11] // check Nan
v_bfe_u32 v6, v[vgprValuC+11], 16, 1               // Non-Nan case: store lsb of bf16
v_add3_u32 v6, v[vgprValuC+11], v6, v9             // Non-Nan case: add lsb and the increment for rounding
v_cndmask_b32 v[vgprValuC+11], v6, v8, s[52:53]    // 
v_lshrrev_b32 v[vgprValuC+11], 16, v[vgprValuC+11] // convert C to bf16
_buffer_store_b16 v11, v10, s[sgprSrdD:sgprSrdD+3], 0, offen, offset:0,  sc0 sc1 // store D
v_cmp_u_f32 s[52:53], v[vgprValuC+13], v[vgprValuC+13] // check Nan
v_bfe_u32 v6, v[vgprValuC+13], 16, 1               // Non-Nan case: store lsb of bf16
v_add3_u32 v6, v[vgprValuC+13], v6, v9             // Non-Nan case: add lsb and the increment for rounding
v_cndmask_b32 v[vgprValuC+13], v6, v8, s[52:53]    // 
v_lshrrev_b32 v[vgprValuC+13], 16, v[vgprValuC+13] // convert C to bf16
_buffer_store_b16 v13, v12, s[sgprSrdD:sgprSrdD+3], 0, offen, offset:0,  sc0 sc1 // store D
v_cmp_u_f32 s[52:53], v[vgprValuC+15], v[vgprValuC+15] // check Nan
v_bfe_u32 v6, v[vgprValuC+15], 16, 1               // Non-Nan case: store lsb of bf16
v_add3_u32 v6, v[vgprValuC+15], v6, v9             // Non-Nan case: add lsb and the increment for rounding
v_cndmask_b32 v[vgprValuC+15], v6, v8, s[52:53]    // 
v_lshrrev_b32 v[vgprValuC+15], 16, v[vgprValuC+15] // convert C to bf16
_buffer_store_b16 v15, v14, s[sgprSrdD:sgprSrdD+3], 0, offen, offset:0,  sc0 sc1 // store D
v_cmp_u_f32 s[52:53], v[vgprValuC+17], v[vgprValuC+17] // check Nan
v_bfe_u32 v6, v[vgprValuC+17], 16, 1               // Non-Nan case: store lsb of bf16
v_add3_u32 v6, v[vgprValuC+17], v6, v9             // Non-Nan case: add lsb and the increment for rounding
v_cndmask_b32 v[vgprValuC+17], v6, v8, s[52:53]    // 
v_lshrrev_b32 v[vgprValuC+17], 16, v[vgprValuC+17] // convert C to bf16
_buffer_store_b16 v17, v16, s[sgprSrdD:sgprSrdD+3], 0, offen, offset:0,  sc0 sc1 // store D
v_cmp_u_f32 s[52:53], v[vgprValuC+19], v[vgprValuC+19] // check Nan
v_bfe_u32 v6, v[vgprValuC+19], 16, 1               // Non-Nan case: store lsb of bf16
v_add3_u32 v6, v[vgprValuC+19], v6, v9             // Non-Nan case: add lsb and the increment for rounding
v_cndmask_b32 v[vgprValuC+19], v6, v8, s[52:53]    // 
v_lshrrev_b32 v[vgprValuC+19], 16, v[vgprValuC+19] // convert C to bf16
_buffer_store_b16 v19, v18, s[sgprSrdD:sgprSrdD+3], 0, offen, offset:0,  sc0 sc1 // store D
v_cmp_u_f32 s[52:53], v[vgprValuC+21], v[vgprValuC+21] // check Nan
v_bfe_u32 v6, v[vgprValuC+21], 16, 1               // Non-Nan case: store lsb of bf16
v_add3_u32 v6, v[vgprValuC+21], v6, v9             // Non-Nan case: add lsb and the increment for rounding
v_cndmask_b32 v[vgprValuC+21], v6, v8, s[52:53]    // 
v_lshrrev_b32 v[vgprValuC+21], 16, v[vgprValuC+21] // convert C to bf16
_buffer_store_b16 v21, v20, s[sgprSrdD:sgprSrdD+3], 0, offen, offset:0,  sc0 sc1 // store D
v_cmp_u_f32 s[52:53], v[vgprValuC+23], v[vgprValuC+23] // check Nan
v_bfe_u32 v6, v[vgprValuC+23], 16, 1               // Non-Nan case: store lsb of bf16
v_add3_u32 v6, v[vgprValuC+23], v6, v9             // Non-Nan case: add lsb and the increment for rounding
v_cndmask_b32 v[vgprValuC+23], v6, v8, s[52:53]    // 
v_lshrrev_b32 v[vgprValuC+23], 16, v[vgprValuC+23] // convert C to bf16
_buffer_store_b16 v23, v22, s[sgprSrdD:sgprSrdD+3], 0, offen, offset:0,  sc0 sc1 // store D
v_cmp_u_f32 s[52:53], v[vgprValuC+25], v[vgprValuC+25] // check Nan
v_bfe_u32 v6, v[vgprValuC+25], 16, 1               // Non-Nan case: store lsb of bf16
v_add3_u32 v6, v[vgprValuC+25], v6, v9             // Non-Nan case: add lsb and the increment for rounding
v_cndmask_b32 v[vgprValuC+25], v6, v8, s[52:53]    // 
v_lshrrev_b32 v[vgprValuC+25], 16, v[vgprValuC+25] // convert C to bf16
_buffer_store_b16 v25, v24, s[sgprSrdD:sgprSrdD+3], 0, offen, offset:0,  sc0 sc1 // store D
v_cmp_u_f32 s[52:53], v[vgprValuC+27], v[vgprValuC+27] // check Nan
v_bfe_u32 v6, v[vgprValuC+27], 16, 1               // Non-Nan case: store lsb of bf16
v_add3_u32 v6, v[vgprValuC+27], v6, v9             // Non-Nan case: add lsb and the increment for rounding
v_cndmask_b32 v[vgprValuC+27], v6, v8, s[52:53]    // 
v_lshrrev_b32 v[vgprValuC+27], 16, v[vgprValuC+27] // convert C to bf16
_buffer_store_b16 v27, v26, s[sgprSrdD:sgprSrdD+3], 0, offen, offset:0,  sc0 sc1 // store D
v_cmp_u_f32 s[52:53], v[vgprValuC+29], v[vgprValuC+29] // check Nan
v_bfe_u32 v6, v[vgprValuC+29], 16, 1               // Non-Nan case: store lsb of bf16
v_add3_u32 v6, v[vgprValuC+29], v6, v9             // Non-Nan case: add lsb and the increment for rounding
v_cndmask_b32 v[vgprValuC+29], v6, v8, s[52:53]    // 
v_lshrrev_b32 v[vgprValuC+29], 16, v[vgprValuC+29] // convert C to bf16
_buffer_store_b16 v29, v28, s[sgprSrdD:sgprSrdD+3], 0, offen, offset:0,  sc0 sc1 // store D
v_cmp_u_f32 s[52:53], v[vgprValuC+31], v[vgprValuC+31] // check Nan
v_bfe_u32 v6, v[vgprValuC+31], 16, 1               // Non-Nan case: store lsb of bf16
v_add3_u32 v6, v[vgprValuC+31], v6, v9             // Non-Nan case: add lsb and the increment for rounding
v_cndmask_b32 v[vgprValuC+31], v6, v8, s[52:53]    // 
v_lshrrev_b32 v[vgprValuC+31], 16, v[vgprValuC+31] // convert C to bf16
_buffer_store_b16 v31, v30, s[sgprSrdD:sgprSrdD+3], 0, offen, offset:0,  sc0 sc1 // store D
v_cmp_u_f32 s[52:53], v[vgprValuC+33], v[vgprValuC+33] // check Nan
v_bfe_u32 v6, v[vgprValuC+33], 16, 1               // Non-Nan case: store lsb of bf16
v_add3_u32 v6, v[vgprValuC+33], v6, v9             // Non-Nan case: add lsb and the increment for rounding
v_cndmask_b32 v[vgprValuC+33], v6, v8, s[52:53]    // 
v_lshrrev_b32 v[vgprValuC+33], 16, v[vgprValuC+33] // convert C to bf16
_buffer_store_b16 v33, v32, s[sgprSrdD:sgprSrdD+3], 0, offen, offset:0,  sc0 sc1 // store D
v_cmp_u_f32 s[52:53], v[vgprValuC+35], v[vgprValuC+35] // check Nan
v_bfe_u32 v6, v[vgprValuC+35], 16, 1               // Non-Nan case: store lsb of bf16
v_add3_u32 v6, v[vgprValuC+35], v6, v9             // Non-Nan case: add lsb and the increment for rounding
v_cndmask_b32 v[vgprValuC+35], v6, v8, s[52:53]    // 
v_lshrrev_b32 v[vgprValuC+35], 16, v[vgprValuC+35] // convert C to bf16
_buffer_store_b16 v35, v34, s[sgprSrdD:sgprSrdD+3], 0, offen, offset:0,  sc0 sc1 // store D
v_cmp_u_f32 s[52:53], v[vgprValuC+37], v[vgprValuC+37] // check Nan
v_bfe_u32 v6, v[vgprValuC+37], 16, 1               // Non-Nan case: store lsb of bf16
v_add3_u32 v6, v[vgprValuC+37], v6, v9             // Non-Nan case: add lsb and the increment for rounding
v_cndmask_b32 v[vgprValuC+37], v6, v8, s[52:53]    // 
v_lshrrev_b32 v[vgprValuC+37], 16, v[vgprValuC+37] // convert C to bf16
_buffer_store_b16 v37, v36, s[sgprSrdD:sgprSrdD+3], 0, offen, offset:0,  sc0 sc1 // store D
v_cmp_u_f32 s[52:53], v[vgprValuC+39], v[vgprValuC+39] // check Nan
v_bfe_u32 v6, v[vgprValuC+39], 16, 1               // Non-Nan case: store lsb of bf16
v_add3_u32 v6, v[vgprValuC+39], v6, v9             // Non-Nan case: add lsb and the increment for rounding
v_cndmask_b32 v[vgprValuC+39], v6, v8, s[52:53]    // 
v_lshrrev_b32 v[vgprValuC+39], 16, v[vgprValuC+39] // convert C to bf16
_buffer_store_b16 v39, v38, s[sgprSrdD:sgprSrdD+3], 0, offen, offset:0,  sc0 sc1 // store D
v_cmp_u_f32 s[52:53], v[vgprValuC+41], v[vgprValuC+41] // check Nan
v_bfe_u32 v6, v[vgprValuC+41], 16, 1               // Non-Nan case: store lsb of bf16
v_add3_u32 v6, v[vgprValuC+41], v6, v9             // Non-Nan case: add lsb and the increment for rounding
v_cndmask_b32 v[vgprValuC+41], v6, v8, s[52:53]    // 
v_lshrrev_b32 v[vgprValuC+41], 16, v[vgprValuC+41] // convert C to bf16
_buffer_store_b16 v41, v40, s[sgprSrdD:sgprSrdD+3], 0, offen, offset:0,  sc0 sc1 // store D
v_cmp_u_f32 s[52:53], v[vgprValuC+43], v[vgprValuC+43] // check Nan
v_bfe_u32 v6, v[vgprValuC+43], 16, 1               // Non-Nan case: store lsb of bf16
v_add3_u32 v6, v[vgprValuC+43], v6, v9             // Non-Nan case: add lsb and the increment for rounding
v_cndmask_b32 v[vgprValuC+43], v6, v8, s[52:53]    // 
v_lshrrev_b32 v[vgprValuC+43], 16, v[vgprValuC+43] // convert C to bf16
_buffer_store_b16 v43, v42, s[sgprSrdD:sgprSrdD+3], 0, offen, offset:0,  sc0 sc1 // store D
v_cmp_u_f32 s[52:53], v[vgprValuC+45], v[vgprValuC+45] // check Nan
v_bfe_u32 v6, v[vgprValuC+45], 16, 1               // Non-Nan case: store lsb of bf16
v_add3_u32 v6, v[vgprValuC+45], v6, v9             // Non-Nan case: add lsb and the increment for rounding
v_cndmask_b32 v[vgprValuC+45], v6, v8, s[52:53]    // 
v_lshrrev_b32 v[vgprValuC+45], 16, v[vgprValuC+45] // convert C to bf16
_buffer_store_b16 v45, v44, s[sgprSrdD:sgprSrdD+3], 0, offen, offset:0,  sc0 sc1 // store D
v_cmp_u_f32 s[52:53], v[vgprValuC+47], v[vgprValuC+47] // check Nan
v_bfe_u32 v6, v[vgprValuC+47], 16, 1               // Non-Nan case: store lsb of bf16
v_add3_u32 v6, v[vgprValuC+47], v6, v9             // Non-Nan case: add lsb and the increment for rounding
v_cndmask_b32 v[vgprValuC+47], v6, v8, s[52:53]    // 
v_lshrrev_b32 v[vgprValuC+47], 16, v[vgprValuC+47] // convert C to bf16
_buffer_store_b16 v47, v46, s[sgprSrdD:sgprSrdD+3], 0, offen, offset:0,  sc0 sc1 // store D
v_cmp_u_f32 s[52:53], v[vgprValuC+49], v[vgprValuC+49] // check Nan
v_bfe_u32 v6, v[vgprValuC+49], 16, 1               // Non-Nan case: store lsb of bf16
v_add3_u32 v6, v[vgprValuC+49], v6, v9             // Non-Nan case: add lsb and the increment for rounding
v_cndmask_b32 v[vgprValuC+49], v6, v8, s[52:53]    // 
v_lshrrev_b32 v[vgprValuC+49], 16, v[vgprValuC+49] // convert C to bf16
_buffer_store_b16 v49, v48, s[sgprSrdD:sgprSrdD+3], 0, offen, offset:0,  sc0 sc1 // store D
v_cmp_u_f32 s[52:53], v[vgprValuC+51], v[vgprValuC+51] // check Nan
v_bfe_u32 v6, v[vgprValuC+51], 16, 1               // Non-Nan case: store lsb of bf16
v_add3_u32 v6, v[vgprValuC+51], v6, v9             // Non-Nan case: add lsb and the increment for rounding
v_cndmask_b32 v[vgprValuC+51], v6, v8, s[52:53]    // 
v_lshrrev_b32 v[vgprValuC+51], 16, v[vgprValuC+51] // convert C to bf16
_buffer_store_b16 v51, v50, s[sgprSrdD:sgprSrdD+3], 0, offen, offset:0,  sc0 sc1 // store D
v_cmp_u_f32 s[52:53], v[vgprValuC+53], v[vgprValuC+53] // check Nan
v_bfe_u32 v6, v[vgprValuC+53], 16, 1               // Non-Nan case: store lsb of bf16
v_add3_u32 v6, v[vgprValuC+53], v6, v9             // Non-Nan case: add lsb and the increment for rounding
v_cndmask_b32 v[vgprValuC+53], v6, v8, s[52:53]    // 
v_lshrrev_b32 v[vgprValuC+53], 16, v[vgprValuC+53] // convert C to bf16
_buffer_store_b16 v53, v52, s[sgprSrdD:sgprSrdD+3], 0, offen, offset:0,  sc0 sc1 // store D
v_cmp_u_f32 s[52:53], v[vgprValuC+55], v[vgprValuC+55] // check Nan
v_bfe_u32 v6, v[vgprValuC+55], 16, 1               // Non-Nan case: store lsb of bf16
v_add3_u32 v6, v[vgprValuC+55], v6, v9             // Non-Nan case: add lsb and the increment for rounding
v_cndmask_b32 v[vgprValuC+55], v6, v8, s[52:53]    // 
v_lshrrev_b32 v[vgprValuC+55], 16, v[vgprValuC+55] // convert C to bf16
_buffer_store_b16 v55, v54, s[sgprSrdD:sgprSrdD+3], 0, offen, offset:0,  sc0 sc1 // store D
v_cmp_u_f32 s[52:53], v[vgprValuC+57], v[vgprValuC+57] // check Nan
v_bfe_u32 v6, v[vgprValuC+57], 16, 1               // Non-Nan case: store lsb of bf16
v_add3_u32 v6, v[vgprValuC+57], v6, v9             // Non-Nan case: add lsb and the increment for rounding
v_cndmask_b32 v[vgprValuC+57], v6, v8, s[52:53]    // 
v_lshrrev_b32 v[vgprValuC+57], 16, v[vgprValuC+57] // convert C to bf16
_buffer_store_b16 v57, v56, s[sgprSrdD:sgprSrdD+3], 0, offen, offset:0,  sc0 sc1 // store D
v_cmp_u_f32 s[52:53], v[vgprValuC+59], v[vgprValuC+59] // check Nan
v_bfe_u32 v6, v[vgprValuC+59], 16, 1               // Non-Nan case: store lsb of bf16
v_add3_u32 v6, v[vgprValuC+59], v6, v9             // Non-Nan case: add lsb and the increment for rounding
v_cndmask_b32 v[vgprValuC+59], v6, v8, s[52:53]    // 
v_lshrrev_b32 v[vgprValuC+59], 16, v[vgprValuC+59] // convert C to bf16
_buffer_store_b16 v59, v58, s[sgprSrdD:sgprSrdD+3], 0, offen, offset:0,  sc0 sc1 // store D
v_cmp_u_f32 s[52:53], v[vgprValuC+61], v[vgprValuC+61] // check Nan
v_bfe_u32 v6, v[vgprValuC+61], 16, 1               // Non-Nan case: store lsb of bf16
v_add3_u32 v6, v[vgprValuC+61], v6, v9             // Non-Nan case: add lsb and the increment for rounding
v_cndmask_b32 v[vgprValuC+61], v6, v8, s[52:53]    // 
v_lshrrev_b32 v[vgprValuC+61], 16, v[vgprValuC+61] // convert C to bf16
_buffer_store_b16 v61, v60, s[sgprSrdD:sgprSrdD+3], 0, offen, offset:0,  sc0 sc1 // store D
v_cmp_u_f32 s[52:53], v[vgprValuC+63], v[vgprValuC+63] // check Nan
v_bfe_u32 v6, v[vgprValuC+63], 16, 1               // Non-Nan case: store lsb of bf16
v_add3_u32 v6, v[vgprValuC+63], v6, v9             // Non-Nan case: add lsb and the increment for rounding
v_cndmask_b32 v[vgprValuC+63], v6, v8, s[52:53]    // 
v_lshrrev_b32 v[vgprValuC+63], 16, v[vgprValuC+63] // convert C to bf16
_buffer_store_b16 v63, v62, s[sgprSrdD:sgprSrdD+3], 0, offen, offset:0,  sc0 sc1 // store D
v_cmp_u_f32 s[52:53], v[vgprValuC+65], v[vgprValuC+65] // check Nan
v_bfe_u32 v6, v[vgprValuC+65], 16, 1               // Non-Nan case: store lsb of bf16
v_add3_u32 v6, v[vgprValuC+65], v6, v9             // Non-Nan case: add lsb and the increment for rounding
v_cndmask_b32 v[vgprValuC+65], v6, v8, s[52:53]    // 
v_lshrrev_b32 v[vgprValuC+65], 16, v[vgprValuC+65] // convert C to bf16
_buffer_store_b16 v65, v64, s[sgprSrdD:sgprSrdD+3], 0, offen, offset:0,  sc0 sc1 // store D
v_cmp_u_f32 s[52:53], v[vgprValuC+67], v[vgprValuC+67] // check Nan
v_bfe_u32 v6, v[vgprValuC+67], 16, 1               // Non-Nan case: store lsb of bf16
v_add3_u32 v6, v[vgprValuC+67], v6, v9             // Non-Nan case: add lsb and the increment for rounding
v_cndmask_b32 v[vgprValuC+67], v6, v8, s[52:53]    // 
v_lshrrev_b32 v[vgprValuC+67], 16, v[vgprValuC+67] // convert C to bf16
_buffer_store_b16 v67, v66, s[sgprSrdD:sgprSrdD+3], 0, offen, offset:0,  sc0 sc1 // store D
v_cmp_u_f32 s[52:53], v[vgprValuC+69], v[vgprValuC+69] // check Nan
v_bfe_u32 v6, v[vgprValuC+69], 16, 1               // Non-Nan case: store lsb of bf16
v_add3_u32 v6, v[vgprValuC+69], v6, v9             // Non-Nan case: add lsb and the increment for rounding
v_cndmask_b32 v[vgprValuC+69], v6, v8, s[52:53]    // 
v_lshrrev_b32 v[vgprValuC+69], 16, v[vgprValuC+69] // convert C to bf16
_buffer_store_b16 v69, v68, s[sgprSrdD:sgprSrdD+3], 0, offen, offset:0,  sc0 sc1 // store D
v_cmp_u_f32 s[52:53], v[vgprValuC+71], v[vgprValuC+71] // check Nan
v_bfe_u32 v6, v[vgprValuC+71], 16, 1               // Non-Nan case: store lsb of bf16
v_add3_u32 v6, v[vgprValuC+71], v6, v9             // Non-Nan case: add lsb and the increment for rounding
v_cndmask_b32 v[vgprValuC+71], v6, v8, s[52:53]    // 
v_lshrrev_b32 v[vgprValuC+71], 16, v[vgprValuC+71] // convert C to bf16
_buffer_store_b16 v71, v70, s[sgprSrdD:sgprSrdD+3], 0, offen, offset:0,  sc0 sc1 // store D
v_cmp_u_f32 s[52:53], v[vgprValuC+73], v[vgprValuC+73] // check Nan
v_bfe_u32 v6, v[vgprValuC+73], 16, 1               // Non-Nan case: store lsb of bf16
v_add3_u32 v6, v[vgprValuC+73], v6, v9             // Non-Nan case: add lsb and the increment for rounding
v_cndmask_b32 v[vgprValuC+73], v6, v8, s[52:53]    // 
v_lshrrev_b32 v[vgprValuC+73], 16, v[vgprValuC+73] // convert C to bf16
_buffer_store_b16 v73, v72, s[sgprSrdD:sgprSrdD+3], 0, offen, offset:0,  sc0 sc1 // store D
v_cmp_u_f32 s[52:53], v[vgprValuC+75], v[vgprValuC+75] // check Nan
v_bfe_u32 v6, v[vgprValuC+75], 16, 1               // Non-Nan case: store lsb of bf16
v_add3_u32 v6, v[vgprValuC+75], v6, v9             // Non-Nan case: add lsb and the increment for rounding
v_cndmask_b32 v[vgprValuC+75], v6, v8, s[52:53]    // 
v_lshrrev_b32 v[vgprValuC+75], 16, v[vgprValuC+75] // convert C to bf16
_buffer_store_b16 v75, v74, s[sgprSrdD:sgprSrdD+3], 0, offen, offset:0,  sc0 sc1 // store D
v_cmp_u_f32 s[52:53], v[vgprValuC+77], v[vgprValuC+77] // check Nan
v_bfe_u32 v6, v[vgprValuC+77], 16, 1               // Non-Nan case: store lsb of bf16
v_add3_u32 v6, v[vgprValuC+77], v6, v9             // Non-Nan case: add lsb and the increment for rounding
v_cndmask_b32 v[vgprValuC+77], v6, v8, s[52:53]    // 
v_lshrrev_b32 v[vgprValuC+77], 16, v[vgprValuC+77] // convert C to bf16
_buffer_store_b16 v77, v76, s[sgprSrdD:sgprSrdD+3], 0, offen, offset:0,  sc0 sc1 // store D
v_cmp_u_f32 s[52:53], v[vgprValuC+79], v[vgprValuC+79] // check Nan
v_bfe_u32 v6, v[vgprValuC+79], 16, 1               // Non-Nan case: store lsb of bf16
v_add3_u32 v6, v[vgprValuC+79], v6, v9             // Non-Nan case: add lsb and the increment for rounding
v_cndmask_b32 v[vgprValuC+79], v6, v8, s[52:53]    // 
v_lshrrev_b32 v[vgprValuC+79], 16, v[vgprValuC+79] // convert C to bf16
_buffer_store_b16 v79, v78, s[sgprSrdD:sgprSrdD+3], 0, offen, offset:0,  sc0 sc1 // store D
v_cmp_u_f32 s[52:53], v[vgprValuC+81], v[vgprValuC+81] // check Nan
v_bfe_u32 v6, v[vgprValuC+81], 16, 1               // Non-Nan case: store lsb of bf16
v_add3_u32 v6, v[vgprValuC+81], v6, v9             // Non-Nan case: add lsb and the increment for rounding
v_cndmask_b32 v[vgprValuC+81], v6, v8, s[52:53]    // 
v_lshrrev_b32 v[vgprValuC+81], 16, v[vgprValuC+81] // convert C to bf16
_buffer_store_b16 v81, v80, s[sgprSrdD:sgprSrdD+3], 0, offen, offset:0,  sc0 sc1 // store D
v_cmp_u_f32 s[52:53], v[vgprValuC+83], v[vgprValuC+83] // check Nan
v_bfe_u32 v6, v[vgprValuC+83], 16, 1               // Non-Nan case: store lsb of bf16
v_add3_u32 v6, v[vgprValuC+83], v6, v9             // Non-Nan case: add lsb and the increment for rounding
v_cndmask_b32 v[vgprValuC+83], v6, v8, s[52:53]    // 
v_lshrrev_b32 v[vgprValuC+83], 16, v[vgprValuC+83] // convert C to bf16
_buffer_store_b16 v83, v82, s[sgprSrdD:sgprSrdD+3], 0, offen, offset:0,  sc0 sc1 // store D
v_cmp_u_f32 s[52:53], v[vgprValuC+85], v[vgprValuC+85] // check Nan
v_bfe_u32 v6, v[vgprValuC+85], 16, 1               // Non-Nan case: store lsb of bf16
v_add3_u32 v6, v[vgprValuC+85], v6, v9             // Non-Nan case: add lsb and the increment for rounding
v_cndmask_b32 v[vgprValuC+85], v6, v8, s[52:53]    // 
v_lshrrev_b32 v[vgprValuC+85], 16, v[vgprValuC+85] // convert C to bf16
_buffer_store_b16 v85, v84, s[sgprSrdD:sgprSrdD+3], 0, offen, offset:0,  sc0 sc1 // store D
v_cmp_u_f32 s[52:53], v[vgprValuC+87], v[vgprValuC+87] // check Nan
v_bfe_u32 v6, v[vgprValuC+87], 16, 1               // Non-Nan case: store lsb of bf16
v_add3_u32 v6, v[vgprValuC+87], v6, v9             // Non-Nan case: add lsb and the increment for rounding
v_cndmask_b32 v[vgprValuC+87], v6, v8, s[52:53]    // 
v_lshrrev_b32 v[vgprValuC+87], 16, v[vgprValuC+87] // convert C to bf16
_buffer_store_b16 v87, v86, s[sgprSrdD:sgprSrdD+3], 0, offen, offset:0,  sc0 sc1 // store D
v_cmp_u_f32 s[52:53], v[vgprValuC+89], v[vgprValuC+89] // check Nan
v_bfe_u32 v6, v[vgprValuC+89], 16, 1               // Non-Nan case: store lsb of bf16
v_add3_u32 v6, v[vgprValuC+89], v6, v9             // Non-Nan case: add lsb and the increment for rounding
v_cndmask_b32 v[vgprValuC+89], v6, v8, s[52:53]    // 
v_lshrrev_b32 v[vgprValuC+89], 16, v[vgprValuC+89] // convert C to bf16
_buffer_store_b16 v89, v88, s[sgprSrdD:sgprSrdD+3], 0, offen, offset:0,  sc0 sc1 // store D
v_cmp_u_f32 s[52:53], v[vgprValuC+91], v[vgprValuC+91] // check Nan
v_bfe_u32 v6, v[vgprValuC+91], 16, 1               // Non-Nan case: store lsb of bf16
v_add3_u32 v6, v[vgprValuC+91], v6, v9             // Non-Nan case: add lsb and the increment for rounding
v_cndmask_b32 v[vgprValuC+91], v6, v8, s[52:53]    // 
v_lshrrev_b32 v[vgprValuC+91], 16, v[vgprValuC+91] // convert C to bf16
_buffer_store_b16 v91, v90, s[sgprSrdD:sgprSrdD+3], 0, offen, offset:0,  sc0 sc1 // store D
v_cmp_u_f32 s[52:53], v[vgprValuC+93], v[vgprValuC+93] // check Nan
v_bfe_u32 v6, v[vgprValuC+93], 16, 1               // Non-Nan case: store lsb of bf16
v_add3_u32 v6, v[vgprValuC+93], v6, v9             // Non-Nan case: add lsb and the increment for rounding
v_cndmask_b32 v[vgprValuC+93], v6, v8, s[52:53]    // 
v_lshrrev_b32 v[vgprValuC+93], 16, v[vgprValuC+93] // convert C to bf16
_buffer_store_b16 v93, v92, s[sgprSrdD:sgprSrdD+3], 0, offen, offset:0,  sc0 sc1 // store D
v_cmp_u_f32 s[52:53], v[vgprValuC+95], v[vgprValuC+95] // check Nan
v_bfe_u32 v6, v[vgprValuC+95], 16, 1               // Non-Nan case: store lsb of bf16
v_add3_u32 v6, v[vgprValuC+95], v6, v9             // Non-Nan case: add lsb and the increment for rounding
v_cndmask_b32 v[vgprValuC+95], v6, v8, s[52:53]    // 
v_lshrrev_b32 v[vgprValuC+95], 16, v[vgprValuC+95] // convert C to bf16
_buffer_store_b16 v95, v94, s[sgprSrdD:sgprSrdD+3], 0, offen, offset:0,  sc0 sc1 // store D
v_cmp_u_f32 s[52:53], v[vgprValuC+97], v[vgprValuC+97] // check Nan
v_bfe_u32 v6, v[vgprValuC+97], 16, 1               // Non-Nan case: store lsb of bf16
v_add3_u32 v6, v[vgprValuC+97], v6, v9             // Non-Nan case: add lsb and the increment for rounding
v_cndmask_b32 v[vgprValuC+97], v6, v8, s[52:53]    // 
v_lshrrev_b32 v[vgprValuC+97], 16, v[vgprValuC+97] // convert C to bf16
_buffer_store_b16 v97, v96, s[sgprSrdD:sgprSrdD+3], 0, offen, offset:0,  sc0 sc1 // store D
v_cmp_u_f32 s[52:53], v[vgprValuC+99], v[vgprValuC+99] // check Nan
v_bfe_u32 v6, v[vgprValuC+99], 16, 1               // Non-Nan case: store lsb of bf16
v_add3_u32 v6, v[vgprValuC+99], v6, v9             // Non-Nan case: add lsb and the increment for rounding
v_cndmask_b32 v[vgprValuC+99], v6, v8, s[52:53]    // 
v_lshrrev_b32 v[vgprValuC+99], 16, v[vgprValuC+99] // convert C to bf16
_buffer_store_b16 v99, v98, s[sgprSrdD:sgprSrdD+3], 0, offen, offset:0,  sc0 sc1 // store D
v_cmp_u_f32 s[52:53], v[vgprValuC+101], v[vgprValuC+101] // check Nan
v_bfe_u32 v6, v[vgprValuC+101], 16, 1              // Non-Nan case: store lsb of bf16
v_add3_u32 v6, v[vgprValuC+101], v6, v9            // Non-Nan case: add lsb and the increment for rounding
v_cndmask_b32 v[vgprValuC+101], v6, v8, s[52:53]   // 
v_lshrrev_b32 v[vgprValuC+101], 16, v[vgprValuC+101] // convert C to bf16
_buffer_store_b16 v101, v100, s[sgprSrdD:sgprSrdD+3], 0, offen, offset:0,  sc0 sc1 // store D
v_cmp_u_f32 s[52:53], v[vgprValuC+103], v[vgprValuC+103] // check Nan
v_bfe_u32 v6, v[vgprValuC+103], 16, 1              // Non-Nan case: store lsb of bf16
v_add3_u32 v6, v[vgprValuC+103], v6, v9            // Non-Nan case: add lsb and the increment for rounding
v_cndmask_b32 v[vgprValuC+103], v6, v8, s[52:53]   // 
v_lshrrev_b32 v[vgprValuC+103], 16, v[vgprValuC+103] // convert C to bf16
_buffer_store_b16 v103, v102, s[sgprSrdD:sgprSrdD+3], 0, offen, offset:0,  sc0 sc1 // store D
	;; [unrolled: 6-line block ×27, first 2 shown]
s_nop 0                                            // 1 wait state required when next inst writes vgprs held by previous dwordx4 store inst
s_branch label_GW_End_44                           // jump to end
GW_Beta_45:
s_mov_b32 s35, 0x0                                 // STATIC_DIV: divisior=192
s_mul_i32 s34, 0x2aa, s[sgprSizeI]                 // tmp1 = dividend * magic hi
s_lshl_b64 s[34:35], s[34:35], 0x10                // left shift 16 bits
s_mul_i32 s33, s[sgprSizeI], 0xaaab                // tmp0 = dividend * magic lo
s_add_u32 s34, s33, s34                            // add lo
s_addc_u32 s35, s35, 0x0                           // add hi
s_lshr_b64 s[34:35], s[34:35], 0x21                // tmp1 = (dividend * magic) << shift
s_mov_b32 s33, s34                                 // quotient
s_mul_i32 s34, s33, 0xc0                           // quotient*divisor
s_sub_u32 s32, s[sgprSizeI], s34                   // rReg = dividend - quotient*divisor
s_add_u32 s33, -0x1, s[sgprNumWorkGroups0]         // 
s_cmp_ge_u32 s[sgprWorkGroup0], s33                // wg0 >= nwg0-1 ?
s_cselect_b32 s32, s32, 0                          // set rMT0
s_cmpk_gt_u32 s32, 0x0                             // rMT0 > 0
s_cbranch_scc1 GW_B1_E1_43                         // jump if edges required
s_and_b32 s32, 255, s[sgprSizeJ]                   // s32 = s[sgprSizeJ] % 256
s_add_u32 s33, -0x1, s[sgprNumWorkGroups1]         // 
s_cmp_ge_u32 s[sgprWorkGroup1], s33                // wg1 >= nwg1-1
s_cselect_b32 s32, s32, 0                          // set rMT1
s_cmpk_gt_u32 s32, 0x0                             // rMT1 > 0
s_cbranch_scc1 GW_B1_E1_43                         // jump if edges required
GW_B1_E0_40:

/* edge=0, allocate 2 sgpr. perBatchTmpS=2 perBatchMaskS=0 perElementMaskS=0 elementsPerBatch=120 */
/* optSingleColVgpr=1 optSharedColVgpr=0 optSGPRUsage=BufferLoad_Mask optSrdIncForRow=1 */
s_sleep 5 // optimization: sync and wait
s_barrier

/******************************************/
/* Global Write Alpha Beta Batch #0 (d1,d0,vc1,vc0) = */
/*    (0,0,0,0:vw1); (0,1,0,0:vw1); (0,2,0,0:vw1); (0,3,0,0:vw1); (0,4,0,0:vw1); (0,5,0,0:vw1); (0,0,1,0:vw1); (0,1,1,0:vw1); (0,2,1,0:vw1); (0,3,1,0:vw1); (0,4,1,0:vw1); (0,5,1,0:vw1); (0,0,2,0:vw1); (0,1,2,0:vw1); (0,2,2,0:vw1); (0,3,2,0:vw1); (0,4,2,0:vw1); (0,5,2,0:vw1); (0,0,3,0:vw1); (0,1,3,0:vw1); (0,2,3,0:vw1); (0,3,3,0:vw1); (0,4,3,0:vw1); (0,5,3,0:vw1); (1,0,0,0:vw1); (1,1,0,0:vw1); (1,2,0,0:vw1); (1,3,0,0:vw1); (1,4,0,0:vw1); (1,5,0,0:vw1); (1,0,1,0:vw1); (1,1,1,0:vw1); (1,2,1,0:vw1); (1,3,1,0:vw1); (1,4,1,0:vw1); (1,5,1,0:vw1); (1,0,2,0:vw1); (1,1,2,0:vw1); (1,2,2,0:vw1); (1,3,2,0:vw1); (1,4,2,0:vw1); (1,5,2,0:vw1); (1,0,3,0:vw1); (1,1,3,0:vw1); (1,2,3,0:vw1); (1,3,3,0:vw1); (1,4,3,0:vw1); (1,5,3,0:vw1); (2,0,0,0:vw1); (2,1,0,0:vw1); (2,2,0,0:vw1); (2,3,0,0:vw1); (2,4,0,0:vw1); (2,5,0,0:vw1); (2,0,1,0:vw1); (2,1,1,0:vw1); (2,2,1,0:vw1); (2,3,1,0:vw1); (2,4,1,0:vw1); (2,5,1,0:vw1); (2,0,2,0:vw1); (2,1,2,0:vw1); (2,2,2,0:vw1); (2,3,2,0:vw1); (2,4,2,0:vw1); (2,5,2,0:vw1); (2,0,3,0:vw1); (2,1,3,0:vw1); (2,2,3,0:vw1); (2,3,3,0:vw1); (2,4,3,0:vw1); (2,5,3,0:vw1); (3,0,0,0:vw1); (3,1,0,0:vw1); (3,2,0,0:vw1); (3,3,0,0:vw1); (3,4,0,0:vw1); (3,5,0,0:vw1); (3,0,1,0:vw1); (3,1,1,0:vw1); (3,2,1,0:vw1); (3,3,1,0:vw1); (3,4,1,0:vw1); (3,5,1,0:vw1); (3,0,2,0:vw1); (3,1,2,0:vw1); (3,2,2,0:vw1); (3,3,2,0:vw1); (3,4,2,0:vw1); (3,5,2,0:vw1); (3,0,3,0:vw1); (3,1,3,0:vw1); (3,2,3,0:vw1); (3,3,3,0:vw1); (3,4,3,0:vw1); (3,5,3,0:vw1); (4,0,0,0:vw1); (4,1,0,0:vw1); (4,2,0,0:vw1); (4,3,0,0:vw1); (4,4,0,0:vw1); (4,5,0,0:vw1); (4,0,1,0:vw1); (4,1,1,0:vw1); (4,2,1,0:vw1); (4,3,1,0:vw1); (4,4,1,0:vw1); (4,5,1,0:vw1); (4,0,2,0:vw1); (4,1,2,0:vw1); (4,2,2,0:vw1); (4,3,2,0:vw1); (4,4,2,0:vw1); (4,5,2,0:vw1); (4,0,3,0:vw1); (4,1,3,0:vw1); (4,2,3,0:vw1); (4,3,3,0:vw1); (4,4,3,0:vw1); (4,5,3,0:vw1) */
/******************************************/

/* calc coords, apply mask, and issue loads (if necessary) */
/* (d1,vc1,d0,vc0)=(0,0,0,0) */
_v_add_lshl_u32 v11, v2, v0, 0x1                   // optSingleColVgpr scaleToBpe: sharedAddrVgpr <- cinRowPtr + coord0, scaled by BPE. BSHERE:coord0=0, coord0Vgpr=0
_buffer_load_d16_b16 v12, v11, s[sgprSrdC:sgprSrdC+3], 0, offen offset:0,  sc0 sc1 // load C for beta calc
/* (d1,vc1,d0,vc0)=(0,0,1,0) */
_buffer_load_d16_b16 v14, v11, s[sgprSrdC:sgprSrdC+3], 0, offen offset:64,  sc0 sc1 // load C for beta calc
/* (d1,vc1,d0,vc0)=(0,0,2,0) */
_buffer_load_d16_b16 v16, v11, s[sgprSrdC:sgprSrdC+3], 0, offen offset:128,  sc0 sc1 // load C for beta calc
/* (d1,vc1,d0,vc0)=(0,0,3,0) */
_buffer_load_d16_b16 v18, v11, s[sgprSrdC:sgprSrdC+3], 0, offen offset:192,  sc0 sc1 // load C for beta calc
/* (d1,vc1,d0,vc0)=(0,0,4,0) */
_buffer_load_d16_b16 v20, v11, s[sgprSrdC:sgprSrdC+3], 0, offen offset:256,  sc0 sc1 // load C for beta calc
/* (d1,vc1,d0,vc0)=(0,0,5,0) */
_buffer_load_d16_b16 v22, v11, s[sgprSrdC:sgprSrdC+3], 0, offen offset:320,  sc0 sc1 // load C for beta calc
/* (d1,vc1,d0,vc0)=(0,1,0,0) */
s_lshl_b32  s32, s[sgprStrideC1J], 1               // incToNextRow: Scale by BPE
s_add_u32  s[sgprSrdC+0], s[sgprSrdC+0], s32       // incToNextRow: gra SRD += inc(lower)
s_addc_u32  s[sgprSrdC+1], s[sgprSrdC+1], 0        // incToNextRow: gra SRD += inc(upper)
_buffer_load_d16_b16 v24, v11, s[sgprSrdC:sgprSrdC+3], 0, offen offset:0,  sc0 sc1 // load C for beta calc
/* (d1,vc1,d0,vc0)=(0,1,1,0) */
_buffer_load_d16_b16 v26, v11, s[sgprSrdC:sgprSrdC+3], 0, offen offset:64,  sc0 sc1 // load C for beta calc
/* (d1,vc1,d0,vc0)=(0,1,2,0) */
_buffer_load_d16_b16 v28, v11, s[sgprSrdC:sgprSrdC+3], 0, offen offset:128,  sc0 sc1 // load C for beta calc
/* (d1,vc1,d0,vc0)=(0,1,3,0) */
_buffer_load_d16_b16 v30, v11, s[sgprSrdC:sgprSrdC+3], 0, offen offset:192,  sc0 sc1 // load C for beta calc
/* (d1,vc1,d0,vc0)=(0,1,4,0) */
_buffer_load_d16_b16 v32, v11, s[sgprSrdC:sgprSrdC+3], 0, offen offset:256,  sc0 sc1 // load C for beta calc
/* (d1,vc1,d0,vc0)=(0,1,5,0) */
_buffer_load_d16_b16 v34, v11, s[sgprSrdC:sgprSrdC+3], 0, offen offset:320,  sc0 sc1 // load C for beta calc
/* (d1,vc1,d0,vc0)=(0,2,0,0) */
s_lshl_b32  s32, s[sgprStrideC1J], 1               // incToNextRow: Scale by BPE
s_add_u32  s[sgprSrdC+0], s[sgprSrdC+0], s32       // incToNextRow: gra SRD += inc(lower)
s_addc_u32  s[sgprSrdC+1], s[sgprSrdC+1], 0        // incToNextRow: gra SRD += inc(upper)
_buffer_load_d16_b16 v36, v11, s[sgprSrdC:sgprSrdC+3], 0, offen offset:0,  sc0 sc1 // load C for beta calc
/* (d1,vc1,d0,vc0)=(0,2,1,0) */
_buffer_load_d16_b16 v38, v11, s[sgprSrdC:sgprSrdC+3], 0, offen offset:64,  sc0 sc1 // load C for beta calc
/* (d1,vc1,d0,vc0)=(0,2,2,0) */
_buffer_load_d16_b16 v40, v11, s[sgprSrdC:sgprSrdC+3], 0, offen offset:128,  sc0 sc1 // load C for beta calc
/* (d1,vc1,d0,vc0)=(0,2,3,0) */
_buffer_load_d16_b16 v42, v11, s[sgprSrdC:sgprSrdC+3], 0, offen offset:192,  sc0 sc1 // load C for beta calc
/* (d1,vc1,d0,vc0)=(0,2,4,0) */
_buffer_load_d16_b16 v44, v11, s[sgprSrdC:sgprSrdC+3], 0, offen offset:256,  sc0 sc1 // load C for beta calc
/* (d1,vc1,d0,vc0)=(0,2,5,0) */
_buffer_load_d16_b16 v46, v11, s[sgprSrdC:sgprSrdC+3], 0, offen offset:320,  sc0 sc1 // load C for beta calc
/* (d1,vc1,d0,vc0)=(0,3,0,0) */
s_lshl_b32  s32, s[sgprStrideC1J], 1               // incToNextRow: Scale by BPE
s_add_u32  s[sgprSrdC+0], s[sgprSrdC+0], s32       // incToNextRow: gra SRD += inc(lower)
s_addc_u32  s[sgprSrdC+1], s[sgprSrdC+1], 0        // incToNextRow: gra SRD += inc(upper)
_buffer_load_d16_b16 v48, v11, s[sgprSrdC:sgprSrdC+3], 0, offen offset:0,  sc0 sc1 // load C for beta calc
/* (d1,vc1,d0,vc0)=(0,3,1,0) */
_buffer_load_d16_b16 v50, v11, s[sgprSrdC:sgprSrdC+3], 0, offen offset:64,  sc0 sc1 // load C for beta calc
/* (d1,vc1,d0,vc0)=(0,3,2,0) */
_buffer_load_d16_b16 v52, v11, s[sgprSrdC:sgprSrdC+3], 0, offen offset:128,  sc0 sc1 // load C for beta calc
/* (d1,vc1,d0,vc0)=(0,3,3,0) */
_buffer_load_d16_b16 v54, v11, s[sgprSrdC:sgprSrdC+3], 0, offen offset:192,  sc0 sc1 // load C for beta calc
/* (d1,vc1,d0,vc0)=(0,3,4,0) */
_buffer_load_d16_b16 v56, v11, s[sgprSrdC:sgprSrdC+3], 0, offen offset:256,  sc0 sc1 // load C for beta calc
/* (d1,vc1,d0,vc0)=(0,3,5,0) */
_buffer_load_d16_b16 v58, v11, s[sgprSrdC:sgprSrdC+3], 0, offen offset:320,  sc0 sc1 // load C for beta calc
/* (d1,vc1,d0,vc0)=(1,0,0,0) */
s_mul_i32 s32, s[sgprStrideC1J], 58                // scale StrideC *= numRows(29) * bpe
s_add_u32  s[sgprSrdC+0], s[sgprSrdC+0], s32       // incToNextRow: gra SRD += inc(lower)
s_addc_u32  s[sgprSrdC+1], s[sgprSrdC+1], 0        // incToNextRow: gra SRD += inc(upper)
_buffer_load_d16_b16 v60, v11, s[sgprSrdC:sgprSrdC+3], 0, offen offset:0,  sc0 sc1 // load C for beta calc
/* (d1,vc1,d0,vc0)=(1,0,1,0) */
_buffer_load_d16_b16 v62, v11, s[sgprSrdC:sgprSrdC+3], 0, offen offset:64,  sc0 sc1 // load C for beta calc
/* (d1,vc1,d0,vc0)=(1,0,2,0) */
_buffer_load_d16_b16 v64, v11, s[sgprSrdC:sgprSrdC+3], 0, offen offset:128,  sc0 sc1 // load C for beta calc
/* (d1,vc1,d0,vc0)=(1,0,3,0) */
_buffer_load_d16_b16 v66, v11, s[sgprSrdC:sgprSrdC+3], 0, offen offset:192,  sc0 sc1 // load C for beta calc
/* (d1,vc1,d0,vc0)=(1,0,4,0) */
_buffer_load_d16_b16 v68, v11, s[sgprSrdC:sgprSrdC+3], 0, offen offset:256,  sc0 sc1 // load C for beta calc
/* (d1,vc1,d0,vc0)=(1,0,5,0) */
_buffer_load_d16_b16 v70, v11, s[sgprSrdC:sgprSrdC+3], 0, offen offset:320,  sc0 sc1 // load C for beta calc
/* (d1,vc1,d0,vc0)=(1,1,0,0) */
s_lshl_b32  s32, s[sgprStrideC1J], 1               // incToNextRow: Scale by BPE
s_add_u32  s[sgprSrdC+0], s[sgprSrdC+0], s32       // incToNextRow: gra SRD += inc(lower)
s_addc_u32  s[sgprSrdC+1], s[sgprSrdC+1], 0        // incToNextRow: gra SRD += inc(upper)
_buffer_load_d16_b16 v72, v11, s[sgprSrdC:sgprSrdC+3], 0, offen offset:0,  sc0 sc1 // load C for beta calc
/* (d1,vc1,d0,vc0)=(1,1,1,0) */
_buffer_load_d16_b16 v74, v11, s[sgprSrdC:sgprSrdC+3], 0, offen offset:64,  sc0 sc1 // load C for beta calc
/* (d1,vc1,d0,vc0)=(1,1,2,0) */
_buffer_load_d16_b16 v76, v11, s[sgprSrdC:sgprSrdC+3], 0, offen offset:128,  sc0 sc1 // load C for beta calc
/* (d1,vc1,d0,vc0)=(1,1,3,0) */
_buffer_load_d16_b16 v78, v11, s[sgprSrdC:sgprSrdC+3], 0, offen offset:192,  sc0 sc1 // load C for beta calc
/* (d1,vc1,d0,vc0)=(1,1,4,0) */
_buffer_load_d16_b16 v80, v11, s[sgprSrdC:sgprSrdC+3], 0, offen offset:256,  sc0 sc1 // load C for beta calc
/* (d1,vc1,d0,vc0)=(1,1,5,0) */
_buffer_load_d16_b16 v82, v11, s[sgprSrdC:sgprSrdC+3], 0, offen offset:320,  sc0 sc1 // load C for beta calc
/* (d1,vc1,d0,vc0)=(1,2,0,0) */
s_lshl_b32  s32, s[sgprStrideC1J], 1               // incToNextRow: Scale by BPE
s_add_u32  s[sgprSrdC+0], s[sgprSrdC+0], s32       // incToNextRow: gra SRD += inc(lower)
s_addc_u32  s[sgprSrdC+1], s[sgprSrdC+1], 0        // incToNextRow: gra SRD += inc(upper)
_buffer_load_d16_b16 v84, v11, s[sgprSrdC:sgprSrdC+3], 0, offen offset:0,  sc0 sc1 // load C for beta calc
/* (d1,vc1,d0,vc0)=(1,2,1,0) */
_buffer_load_d16_b16 v86, v11, s[sgprSrdC:sgprSrdC+3], 0, offen offset:64,  sc0 sc1 // load C for beta calc
/* (d1,vc1,d0,vc0)=(1,2,2,0) */
_buffer_load_d16_b16 v88, v11, s[sgprSrdC:sgprSrdC+3], 0, offen offset:128,  sc0 sc1 // load C for beta calc
/* (d1,vc1,d0,vc0)=(1,2,3,0) */
_buffer_load_d16_b16 v90, v11, s[sgprSrdC:sgprSrdC+3], 0, offen offset:192,  sc0 sc1 // load C for beta calc
/* (d1,vc1,d0,vc0)=(1,2,4,0) */
_buffer_load_d16_b16 v92, v11, s[sgprSrdC:sgprSrdC+3], 0, offen offset:256,  sc0 sc1 // load C for beta calc
/* (d1,vc1,d0,vc0)=(1,2,5,0) */
_buffer_load_d16_b16 v94, v11, s[sgprSrdC:sgprSrdC+3], 0, offen offset:320,  sc0 sc1 // load C for beta calc
/* (d1,vc1,d0,vc0)=(1,3,0,0) */
s_lshl_b32  s32, s[sgprStrideC1J], 1               // incToNextRow: Scale by BPE
s_add_u32  s[sgprSrdC+0], s[sgprSrdC+0], s32       // incToNextRow: gra SRD += inc(lower)
s_addc_u32  s[sgprSrdC+1], s[sgprSrdC+1], 0        // incToNextRow: gra SRD += inc(upper)
_buffer_load_d16_b16 v96, v11, s[sgprSrdC:sgprSrdC+3], 0, offen offset:0,  sc0 sc1 // load C for beta calc
/* (d1,vc1,d0,vc0)=(1,3,1,0) */
_buffer_load_d16_b16 v98, v11, s[sgprSrdC:sgprSrdC+3], 0, offen offset:64,  sc0 sc1 // load C for beta calc
/* (d1,vc1,d0,vc0)=(1,3,2,0) */
_buffer_load_d16_b16 v100, v11, s[sgprSrdC:sgprSrdC+3], 0, offen offset:128,  sc0 sc1 // load C for beta calc
/* (d1,vc1,d0,vc0)=(1,3,3,0) */
_buffer_load_d16_b16 v102, v11, s[sgprSrdC:sgprSrdC+3], 0, offen offset:192,  sc0 sc1 // load C for beta calc
/* (d1,vc1,d0,vc0)=(1,3,4,0) */
_buffer_load_d16_b16 v104, v11, s[sgprSrdC:sgprSrdC+3], 0, offen offset:256,  sc0 sc1 // load C for beta calc
/* (d1,vc1,d0,vc0)=(1,3,5,0) */
_buffer_load_d16_b16 v106, v11, s[sgprSrdC:sgprSrdC+3], 0, offen offset:320,  sc0 sc1 // load C for beta calc
/* (d1,vc1,d0,vc0)=(2,0,0,0) */
s_mul_i32 s32, s[sgprStrideC1J], 58                // scale StrideC *= numRows(29) * bpe
s_add_u32  s[sgprSrdC+0], s[sgprSrdC+0], s32       // incToNextRow: gra SRD += inc(lower)
s_addc_u32  s[sgprSrdC+1], s[sgprSrdC+1], 0        // incToNextRow: gra SRD += inc(upper)
	;; [unrolled: 60-line block ×4, first 2 shown]
_buffer_load_d16_b16 v207, v11, s[sgprSrdC:sgprSrdC+3], 0, offen offset:0,  sc0 sc1 // load C for beta calc
/* (d1,vc1,d0,vc0)=(4,0,1,0) */
_buffer_load_d16_b16 v209, v11, s[sgprSrdC:sgprSrdC+3], 0, offen offset:64,  sc0 sc1 // load C for beta calc
/* (d1,vc1,d0,vc0)=(4,0,2,0) */
_buffer_load_d16_b16 v211, v11, s[sgprSrdC:sgprSrdC+3], 0, offen offset:128,  sc0 sc1 // load C for beta calc
/* (d1,vc1,d0,vc0)=(4,0,3,0) */
_buffer_load_d16_b16 v213, v11, s[sgprSrdC:sgprSrdC+3], 0, offen offset:192,  sc0 sc1 // load C for beta calc
/* (d1,vc1,d0,vc0)=(4,0,4,0) */
_buffer_load_d16_b16 v215, v11, s[sgprSrdC:sgprSrdC+3], 0, offen offset:256,  sc0 sc1 // load C for beta calc
/* (d1,vc1,d0,vc0)=(4,0,5,0) */
_buffer_load_d16_b16 v217, v11, s[sgprSrdC:sgprSrdC+3], 0, offen offset:320,  sc0 sc1 // load C for beta calc
/* (d1,vc1,d0,vc0)=(4,1,0,0) */
s_lshl_b32  s32, s[sgprStrideC1J], 1               // incToNextRow: Scale by BPE
s_add_u32  s[sgprSrdC+0], s[sgprSrdC+0], s32       // incToNextRow: gra SRD += inc(lower)
s_addc_u32  s[sgprSrdC+1], s[sgprSrdC+1], 0        // incToNextRow: gra SRD += inc(upper)
_buffer_load_d16_b16 v219, v11, s[sgprSrdC:sgprSrdC+3], 0, offen offset:0,  sc0 sc1 // load C for beta calc
/* (d1,vc1,d0,vc0)=(4,1,1,0) */
_buffer_load_d16_b16 v221, v11, s[sgprSrdC:sgprSrdC+3], 0, offen offset:64,  sc0 sc1 // load C for beta calc
/* (d1,vc1,d0,vc0)=(4,1,2,0) */
_buffer_load_d16_b16 v223, v11, s[sgprSrdC:sgprSrdC+3], 0, offen offset:128,  sc0 sc1 // load C for beta calc
/* (d1,vc1,d0,vc0)=(4,1,3,0) */
_buffer_load_d16_b16 v225, v11, s[sgprSrdC:sgprSrdC+3], 0, offen offset:192,  sc0 sc1 // load C for beta calc
/* (d1,vc1,d0,vc0)=(4,1,4,0) */
_buffer_load_d16_b16 v227, v11, s[sgprSrdC:sgprSrdC+3], 0, offen offset:256,  sc0 sc1 // load C for beta calc
/* (d1,vc1,d0,vc0)=(4,1,5,0) */
_buffer_load_d16_b16 v229, v11, s[sgprSrdC:sgprSrdC+3], 0, offen offset:320,  sc0 sc1 // load C for beta calc
/* (d1,vc1,d0,vc0)=(4,2,0,0) */
s_lshl_b32  s32, s[sgprStrideC1J], 1               // incToNextRow: Scale by BPE
s_add_u32  s[sgprSrdC+0], s[sgprSrdC+0], s32       // incToNextRow: gra SRD += inc(lower)
s_addc_u32  s[sgprSrdC+1], s[sgprSrdC+1], 0        // incToNextRow: gra SRD += inc(upper)
	;; [unrolled: 15-line block ×3, first 2 shown]
_buffer_load_d16_b16 v243, v11, s[sgprSrdC:sgprSrdC+3], 0, offen offset:0,  sc0 sc1 // load C for beta calc
/* (d1,vc1,d0,vc0)=(4,3,1,0) */
_buffer_load_d16_b16 v245, v11, s[sgprSrdC:sgprSrdC+3], 0, offen offset:64,  sc0 sc1 // load C for beta calc
/* (d1,vc1,d0,vc0)=(4,3,2,0) */
	;; [unrolled: 2-line block ×5, first 2 shown]
_buffer_load_d16_b16 v253, v11, s[sgprSrdC:sgprSrdC+3], 0, offen offset:320,  sc0 sc1 // load C for beta calc
_v_add_lshl_u32 v10, v3, v0, 0x1                   // optSingleColVgpr scaleToBpe: sharedAddrVgpr <- cinRowPtr + coord0, scaled by BPE. BSHERE:coord0=0, coord0Vgpr=0
s_sleep 5 // optimization: sync and wait
s_barrier
v_accvgpr_read_b32 v[vgprValuC+13], acc0 // copy acc to vreg[0]
v_accvgpr_read_b32 v[vgprValuC+15], acc4 // copy acc to vreg[1]
v_accvgpr_read_b32 v[vgprValuC+17], acc8 // copy acc to vreg[2]
v_accvgpr_read_b32 v[vgprValuC+19], acc12 // copy acc to vreg[3]
v_accvgpr_read_b32 v[vgprValuC+21], acc16 // copy acc to vreg[4]
v_accvgpr_read_b32 v[vgprValuC+23], acc20 // copy acc to vreg[5]
v_accvgpr_read_b32 v[vgprValuC+25], acc1 // copy acc to vreg[6]
v_accvgpr_read_b32 v[vgprValuC+27], acc5 // copy acc to vreg[7]
v_accvgpr_read_b32 v[vgprValuC+29], acc9 // copy acc to vreg[8]
v_accvgpr_read_b32 v[vgprValuC+31], acc13 // copy acc to vreg[9]
v_accvgpr_read_b32 v[vgprValuC+33], acc17 // copy acc to vreg[10]
v_accvgpr_read_b32 v[vgprValuC+35], acc21 // copy acc to vreg[11]
v_accvgpr_read_b32 v[vgprValuC+37], acc2 // copy acc to vreg[12]
v_accvgpr_read_b32 v[vgprValuC+39], acc6 // copy acc to vreg[13]
v_accvgpr_read_b32 v[vgprValuC+41], acc10 // copy acc to vreg[14]
v_accvgpr_read_b32 v[vgprValuC+43], acc14 // copy acc to vreg[15]
v_accvgpr_read_b32 v[vgprValuC+45], acc18 // copy acc to vreg[16]
v_accvgpr_read_b32 v[vgprValuC+47], acc22 // copy acc to vreg[17]
v_accvgpr_read_b32 v[vgprValuC+49], acc3 // copy acc to vreg[18]
v_accvgpr_read_b32 v[vgprValuC+51], acc7 // copy acc to vreg[19]
v_accvgpr_read_b32 v[vgprValuC+53], acc11 // copy acc to vreg[20]
v_accvgpr_read_b32 v[vgprValuC+55], acc15 // copy acc to vreg[21]
v_accvgpr_read_b32 v[vgprValuC+57], acc19 // copy acc to vreg[22]
v_accvgpr_read_b32 v[vgprValuC+59], acc23 // copy acc to vreg[23]
v_accvgpr_read_b32 v[vgprValuC+61], acc24 // copy acc to vreg[24]
v_accvgpr_read_b32 v[vgprValuC+63], acc28 // copy acc to vreg[25]
v_accvgpr_read_b32 v[vgprValuC+65], acc32 // copy acc to vreg[26]
v_accvgpr_read_b32 v[vgprValuC+67], acc36 // copy acc to vreg[27]
v_accvgpr_read_b32 v[vgprValuC+69], acc40 // copy acc to vreg[28]
v_accvgpr_read_b32 v[vgprValuC+71], acc44 // copy acc to vreg[29]
v_accvgpr_read_b32 v[vgprValuC+73], acc25 // copy acc to vreg[30]
v_accvgpr_read_b32 v[vgprValuC+75], acc29 // copy acc to vreg[31]
v_accvgpr_read_b32 v[vgprValuC+77], acc33 // copy acc to vreg[32]
v_accvgpr_read_b32 v[vgprValuC+79], acc37 // copy acc to vreg[33]
v_accvgpr_read_b32 v[vgprValuC+81], acc41 // copy acc to vreg[34]
v_accvgpr_read_b32 v[vgprValuC+83], acc45 // copy acc to vreg[35]
v_accvgpr_read_b32 v[vgprValuC+85], acc26 // copy acc to vreg[36]
v_accvgpr_read_b32 v[vgprValuC+87], acc30 // copy acc to vreg[37]
v_accvgpr_read_b32 v[vgprValuC+89], acc34 // copy acc to vreg[38]
v_accvgpr_read_b32 v[vgprValuC+91], acc38 // copy acc to vreg[39]
v_accvgpr_read_b32 v[vgprValuC+93], acc42 // copy acc to vreg[40]
v_accvgpr_read_b32 v[vgprValuC+95], acc46 // copy acc to vreg[41]
v_accvgpr_read_b32 v[vgprValuC+97], acc27 // copy acc to vreg[42]
v_accvgpr_read_b32 v[vgprValuC+99], acc31 // copy acc to vreg[43]
v_accvgpr_read_b32 v[vgprValuC+101], acc35 // copy acc to vreg[44]
v_accvgpr_read_b32 v[vgprValuC+103], acc39 // copy acc to vreg[45]
v_accvgpr_read_b32 v[vgprValuC+105], acc43 // copy acc to vreg[46]
v_accvgpr_read_b32 v[vgprValuC+107], acc47 // copy acc to vreg[47]
v_accvgpr_read_b32 v[vgprValuC+109], acc48 // copy acc to vreg[48]
v_accvgpr_read_b32 v[vgprValuC+111], acc52 // copy acc to vreg[49]
v_accvgpr_read_b32 v[vgprValuC+113], acc56 // copy acc to vreg[50]
v_accvgpr_read_b32 v[vgprValuC+115], acc60 // copy acc to vreg[51]
v_accvgpr_read_b32 v[vgprValuC+117], acc64 // copy acc to vreg[52]
v_accvgpr_read_b32 v[vgprValuC+119], acc68 // copy acc to vreg[53]
v_accvgpr_read_b32 v[vgprValuC+121], acc49 // copy acc to vreg[54]
v_accvgpr_read_b32 v[vgprValuC+123], acc53 // copy acc to vreg[55]
v_accvgpr_read_b32 v[vgprValuC+125], acc57 // copy acc to vreg[56]
v_accvgpr_read_b32 v[vgprValuC+127], acc61 // copy acc to vreg[57]
v_accvgpr_read_b32 v[vgprValuC+129], acc65 // copy acc to vreg[58]
v_accvgpr_read_b32 v[vgprValuC+131], acc69 // copy acc to vreg[59]
v_accvgpr_read_b32 v[vgprValuC+133], acc50 // copy acc to vreg[60]
v_accvgpr_read_b32 v[vgprValuC+135], acc54 // copy acc to vreg[61]
v_accvgpr_read_b32 v[vgprValuC+137], acc58 // copy acc to vreg[62]
v_accvgpr_read_b32 v[vgprValuC+139], acc62 // copy acc to vreg[63]
v_accvgpr_read_b32 v[vgprValuC+141], acc66 // copy acc to vreg[64]
v_accvgpr_read_b32 v[vgprValuC+143], acc70 // copy acc to vreg[65]
v_accvgpr_read_b32 v[vgprValuC+145], acc51 // copy acc to vreg[66]
v_accvgpr_read_b32 v[vgprValuC+147], acc55 // copy acc to vreg[67]
v_accvgpr_read_b32 v[vgprValuC+149], acc59 // copy acc to vreg[68]
v_accvgpr_read_b32 v[vgprValuC+151], acc63 // copy acc to vreg[69]
v_accvgpr_read_b32 v[vgprValuC+153], acc67 // copy acc to vreg[70]
v_accvgpr_read_b32 v[vgprValuC+155], acc71 // copy acc to vreg[71]
v_accvgpr_read_b32 v[vgprValuC+157], acc72 // copy acc to vreg[72]
v_accvgpr_read_b32 v[vgprValuC+159], acc76 // copy acc to vreg[73]
v_accvgpr_read_b32 v[vgprValuC+161], acc80 // copy acc to vreg[74]
v_accvgpr_read_b32 v[vgprValuC+163], acc84 // copy acc to vreg[75]
v_accvgpr_read_b32 v[vgprValuC+165], acc88 // copy acc to vreg[76]
v_accvgpr_read_b32 v[vgprValuC+167], acc92 // copy acc to vreg[77]
v_accvgpr_read_b32 v[vgprValuC+169], acc73 // copy acc to vreg[78]
v_accvgpr_read_b32 v[vgprValuC+171], acc77 // copy acc to vreg[79]
v_accvgpr_read_b32 v[vgprValuC+176], acc81 // copy acc to vreg[80]
v_accvgpr_read_b32 v[vgprValuC+178], acc85 // copy acc to vreg[81]
v_accvgpr_read_b32 v[vgprValuC+180], acc89 // copy acc to vreg[82]
v_accvgpr_read_b32 v[vgprValuC+182], acc93 // copy acc to vreg[83]
v_accvgpr_read_b32 v[vgprValuC+184], acc74 // copy acc to vreg[84]
v_accvgpr_read_b32 v[vgprValuC+186], acc78 // copy acc to vreg[85]
v_accvgpr_read_b32 v[vgprValuC+188], acc82 // copy acc to vreg[86]
v_accvgpr_read_b32 v[vgprValuC+190], acc86 // copy acc to vreg[87]
v_accvgpr_read_b32 v[vgprValuC+192], acc90 // copy acc to vreg[88]
v_accvgpr_read_b32 v[vgprValuC+194], acc94 // copy acc to vreg[89]
v_accvgpr_read_b32 v[vgprValuC+196], acc75 // copy acc to vreg[90]
v_accvgpr_read_b32 v[vgprValuC+198], acc79 // copy acc to vreg[91]
v_accvgpr_read_b32 v[vgprValuC+200], acc83 // copy acc to vreg[92]
v_accvgpr_read_b32 v[vgprValuC+202], acc87 // copy acc to vreg[93]
v_accvgpr_read_b32 v[vgprValuC+204], acc91 // copy acc to vreg[94]
v_accvgpr_read_b32 v[vgprValuC+206], acc95 // copy acc to vreg[95]
v_accvgpr_read_b32 v[vgprValuC+208], acc96 // copy acc to vreg[96]
v_accvgpr_read_b32 v[vgprValuC+210], acc100 // copy acc to vreg[97]
v_accvgpr_read_b32 v[vgprValuC+212], acc104 // copy acc to vreg[98]
v_accvgpr_read_b32 v[vgprValuC+214], acc108 // copy acc to vreg[99]
v_accvgpr_read_b32 v[vgprValuC+216], acc112 // copy acc to vreg[100]
v_accvgpr_read_b32 v[vgprValuC+218], acc116 // copy acc to vreg[101]
v_accvgpr_read_b32 v[vgprValuC+220], acc97 // copy acc to vreg[102]
v_accvgpr_read_b32 v[vgprValuC+222], acc101 // copy acc to vreg[103]
v_accvgpr_read_b32 v[vgprValuC+224], acc105 // copy acc to vreg[104]
v_accvgpr_read_b32 v[vgprValuC+226], acc109 // copy acc to vreg[105]
v_accvgpr_read_b32 v[vgprValuC+228], acc113 // copy acc to vreg[106]
v_accvgpr_read_b32 v[vgprValuC+230], acc117 // copy acc to vreg[107]
v_accvgpr_read_b32 v[vgprValuC+232], acc98 // copy acc to vreg[108]
v_accvgpr_read_b32 v[vgprValuC+234], acc102 // copy acc to vreg[109]
v_accvgpr_read_b32 v[vgprValuC+236], acc106 // copy acc to vreg[110]
v_accvgpr_read_b32 v[vgprValuC+238], acc110 // copy acc to vreg[111]
v_accvgpr_read_b32 v[vgprValuC+240], acc114 // copy acc to vreg[112]
v_accvgpr_read_b32 v[vgprValuC+242], acc118 // copy acc to vreg[113]
v_accvgpr_read_b32 v[vgprValuC+244], acc99 // copy acc to vreg[114]
v_accvgpr_read_b32 v[vgprValuC+246], acc103 // copy acc to vreg[115]
v_accvgpr_read_b32 v[vgprValuC+248], acc107 // copy acc to vreg[116]
v_accvgpr_read_b32 v[vgprValuC+250], acc111 // copy acc to vreg[117]
v_accvgpr_read_b32 v[vgprValuC+252], acc115 // copy acc to vreg[118]
v_accvgpr_read_b32 v[vgprValuC+254], acc119 // copy acc to vreg[119]
s_nop 1                                            // 2 wait states required before reading vgpr

/* rC *= alpha batchElements=[(0, 0, 0, 0), (0, 1, 0, 0), (0, 2, 0, 0), (0, 3, 0, 0), (0, 4, 0, 0), (0, 5, 0, 0), (0, 0, 1, 0), (0, 1, 1, 0), (0, 2, 1, 0), (0, 3, 1, 0), (0, 4, 1, 0), (0, 5, 1, 0), (0, 0, 2, 0), (0, 1, 2, 0), (0, 2, 2, 0), (0, 3, 2, 0), (0, 4, 2, 0), (0, 5, 2, 0), (0, 0, 3, 0), (0, 1, 3, 0), (0, 2, 3, 0), (0, 3, 3, 0), (0, 4, 3, 0), (0, 5, 3, 0), (1, 0, 0, 0), (1, 1, 0, 0), (1, 2, 0, 0), (1, 3, 0, 0), (1, 4, 0, 0), (1, 5, 0, 0), (1, 0, 1, 0), (1, 1, 1, 0), (1, 2, 1, 0), (1, 3, 1, 0), (1, 4, 1, 0), (1, 5, 1, 0), (1, 0, 2, 0), (1, 1, 2, 0), (1, 2, 2, 0), (1, 3, 2, 0), (1, 4, 2, 0), (1, 5, 2, 0), (1, 0, 3, 0), (1, 1, 3, 0), (1, 2, 3, 0), (1, 3, 3, 0), (1, 4, 3, 0), (1, 5, 3, 0), (2, 0, 0, 0), (2, 1, 0, 0), (2, 2, 0, 0), (2, 3, 0, 0), (2, 4, 0, 0), (2, 5, 0, 0), (2, 0, 1, 0), (2, 1, 1, 0), (2, 2, 1, 0), (2, 3, 1, 0), (2, 4, 1, 0), (2, 5, 1, 0), (2, 0, 2, 0), (2, 1, 2, 0), (2, 2, 2, 0), (2, 3, 2, 0), (2, 4, 2, 0), (2, 5, 2, 0), (2, 0, 3, 0), (2, 1, 3, 0), (2, 2, 3, 0), (2, 3, 3, 0), (2, 4, 3, 0), (2, 5, 3, 0), (3, 0, 0, 0), (3, 1, 0, 0), (3, 2, 0, 0), (3, 3, 0, 0), (3, 4, 0, 0), (3, 5, 0, 0), (3, 0, 1, 0), (3, 1, 1, 0), (3, 2, 1, 0), (3, 3, 1, 0), (3, 4, 1, 0), (3, 5, 1, 0), (3, 0, 2, 0), (3, 1, 2, 0), (3, 2, 2, 0), (3, 3, 2, 0), (3, 4, 2, 0), (3, 5, 2, 0), (3, 0, 3, 0), (3, 1, 3, 0), (3, 2, 3, 0), (3, 3, 3, 0), (3, 4, 3, 0), (3, 5, 3, 0), (4, 0, 0, 0), (4, 1, 0, 0), (4, 2, 0, 0), (4, 3, 0, 0), (4, 4, 0, 0), (4, 5, 0, 0), (4, 0, 1, 0), (4, 1, 1, 0), (4, 2, 1, 0), (4, 3, 1, 0), (4, 4, 1, 0), (4, 5, 1, 0), (4, 0, 2, 0), (4, 1, 2, 0), (4, 2, 2, 0), (4, 3, 2, 0), (4, 4, 2, 0), (4, 5, 2, 0), (4, 0, 3, 0), (4, 1, 3, 0), (4, 2, 3, 0), (4, 3, 3, 0), (4, 4, 3, 0), (4, 5, 3, 0)] */
v_mul_f32 v[vgprValuC+13], s[sgprAlpha], v[vgprValuC+13] // *= alpha
v_mul_f32 v[vgprValuC+15], s[sgprAlpha], v[vgprValuC+15] // *= alpha
	;; [unrolled: 1-line block ×120, first 2 shown]

/* apply mask, calc new C and issue writes */
v_mov_b32 v7, 0xffff0000                           // mask for pack two bfloat16 element to 32bit
v_mov_b32 v8, 0x7fff0000                           // fp32 Nan
v_mov_b32 v9, 0x7fff                               // rounding bias for bfloat16

s_waitcnt vmcnt(63)                                // wait C (interleaved) 119 = 120 - 0 + 0 - 1
v_lshlrev_b32 v4, 16, v12                          // convert bf16 to fp32
_v_mac_f32 v[vgprValuC+13], v4, s[sgprBeta]        // finalSum = sum*alpha + C*beta
v_cmp_u_f32 s[32:33], v[vgprValuC+13], v[vgprValuC+13] // check Nan
v_bfe_u32 v6, v[vgprValuC+13], 16, 1               // Non-Nan case: store lsb of bf16
v_add3_u32 v6, v[vgprValuC+13], v6, v9             // Non-Nan case: add lsb and the increment for rounding
v_cndmask_b32 v[vgprValuC+13], v6, v8, s[32:33]    // 
v_lshrrev_b32 v[vgprValuC+13], 16, v[vgprValuC+13] // convert C to bf16
_buffer_store_b16 v13, v10, s[sgprSrdD:sgprSrdD+3], 0, offen, offset:0,  sc0 sc1 // store D

s_waitcnt vmcnt(63)                                // wait C (interleaved) 119 = 120 - 1 + 1 - 1
v_lshlrev_b32 v4, 16, v14                          // convert bf16 to fp32
_v_mac_f32 v[vgprValuC+15], v4, s[sgprBeta]        // finalSum = sum*alpha + C*beta
v_cmp_u_f32 s[32:33], v[vgprValuC+15], v[vgprValuC+15] // check Nan
v_bfe_u32 v6, v[vgprValuC+15], 16, 1               // Non-Nan case: store lsb of bf16
v_add3_u32 v6, v[vgprValuC+15], v6, v9             // Non-Nan case: add lsb and the increment for rounding
v_cndmask_b32 v[vgprValuC+15], v6, v8, s[32:33]    // 
v_lshrrev_b32 v[vgprValuC+15], 16, v[vgprValuC+15] // convert C to bf16
_buffer_store_b16 v15, v10, s[sgprSrdD:sgprSrdD+3], 0, offen, offset:64,  sc0 sc1 // store D
	;; [unrolled: 10-line block ×6, first 2 shown]

s_waitcnt vmcnt(63)                                // wait C (interleaved) 119 = 120 - 6 + 6 - 1
v_lshlrev_b32 v4, 16, v24                          // convert bf16 to fp32
_v_mac_f32 v[vgprValuC+25], v4, s[sgprBeta]        // finalSum = sum*alpha + C*beta
v_cmp_u_f32 s[32:33], v[vgprValuC+25], v[vgprValuC+25] // check Nan
v_bfe_u32 v6, v[vgprValuC+25], 16, 1               // Non-Nan case: store lsb of bf16
v_add3_u32 v6, v[vgprValuC+25], v6, v9             // Non-Nan case: add lsb and the increment for rounding
v_cndmask_b32 v[vgprValuC+25], v6, v8, s[32:33]    // 
v_lshrrev_b32 v[vgprValuC+25], 16, v[vgprValuC+25] // convert C to bf16
s_lshl_b32  s32, s[sgprStrideD1J], 1               // incToNextRow: Scale by BPE
s_add_u32  s[sgprSrdD+0], s[sgprSrdD+0], s32       // incToNextRow: gra SRD += inc(lower)
s_addc_u32  s[sgprSrdD+1], s[sgprSrdD+1], 0        // incToNextRow: gra SRD += inc(upper)
_buffer_store_b16 v25, v10, s[sgprSrdD:sgprSrdD+3], 0, offen, offset:0,  sc0 sc1 // store D

s_waitcnt vmcnt(63)                                // wait C (interleaved) 119 = 120 - 7 + 7 - 1
v_lshlrev_b32 v4, 16, v26                          // convert bf16 to fp32
_v_mac_f32 v[vgprValuC+27], v4, s[sgprBeta]        // finalSum = sum*alpha + C*beta
v_cmp_u_f32 s[32:33], v[vgprValuC+27], v[vgprValuC+27] // check Nan
v_bfe_u32 v6, v[vgprValuC+27], 16, 1               // Non-Nan case: store lsb of bf16
v_add3_u32 v6, v[vgprValuC+27], v6, v9             // Non-Nan case: add lsb and the increment for rounding
v_cndmask_b32 v[vgprValuC+27], v6, v8, s[32:33]    // 
v_lshrrev_b32 v[vgprValuC+27], 16, v[vgprValuC+27] // convert C to bf16
_buffer_store_b16 v27, v10, s[sgprSrdD:sgprSrdD+3], 0, offen, offset:64,  sc0 sc1 // store D

s_waitcnt vmcnt(63)                                // wait C (interleaved) 119 = 120 - 8 + 8 - 1
v_lshlrev_b32 v4, 16, v28                          // convert bf16 to fp32
_v_mac_f32 v[vgprValuC+29], v4, s[sgprBeta]        // finalSum = sum*alpha + C*beta
v_cmp_u_f32 s[32:33], v[vgprValuC+29], v[vgprValuC+29] // check Nan
v_bfe_u32 v6, v[vgprValuC+29], 16, 1               // Non-Nan case: store lsb of bf16
v_add3_u32 v6, v[vgprValuC+29], v6, v9             // Non-Nan case: add lsb and the increment for rounding
v_cndmask_b32 v[vgprValuC+29], v6, v8, s[32:33]    // 
v_lshrrev_b32 v[vgprValuC+29], 16, v[vgprValuC+29] // convert C to bf16
_buffer_store_b16 v29, v10, s[sgprSrdD:sgprSrdD+3], 0, offen, offset:128,  sc0 sc1 // store D

s_waitcnt vmcnt(63)                                // wait C (interleaved) 119 = 120 - 9 + 9 - 1
v_lshlrev_b32 v4, 16, v30                          // convert bf16 to fp32
_v_mac_f32 v[vgprValuC+31], v4, s[sgprBeta]        // finalSum = sum*alpha + C*beta
v_cmp_u_f32 s[32:33], v[vgprValuC+31], v[vgprValuC+31] // check Nan
v_bfe_u32 v6, v[vgprValuC+31], 16, 1               // Non-Nan case: store lsb of bf16
v_add3_u32 v6, v[vgprValuC+31], v6, v9             // Non-Nan case: add lsb and the increment for rounding
v_cndmask_b32 v[vgprValuC+31], v6, v8, s[32:33]    // 
v_lshrrev_b32 v[vgprValuC+31], 16, v[vgprValuC+31] // convert C to bf16
_buffer_store_b16 v31, v10, s[sgprSrdD:sgprSrdD+3], 0, offen, offset:192,  sc0 sc1 // store D

s_waitcnt vmcnt(63)                                // wait C (interleaved) 119 = 120 - 10 + 10 - 1
v_lshlrev_b32 v4, 16, v32                          // convert bf16 to fp32
_v_mac_f32 v[vgprValuC+33], v4, s[sgprBeta]        // finalSum = sum*alpha + C*beta
v_cmp_u_f32 s[32:33], v[vgprValuC+33], v[vgprValuC+33] // check Nan
v_bfe_u32 v6, v[vgprValuC+33], 16, 1               // Non-Nan case: store lsb of bf16
v_add3_u32 v6, v[vgprValuC+33], v6, v9             // Non-Nan case: add lsb and the increment for rounding
v_cndmask_b32 v[vgprValuC+33], v6, v8, s[32:33]    // 
v_lshrrev_b32 v[vgprValuC+33], 16, v[vgprValuC+33] // convert C to bf16
_buffer_store_b16 v33, v10, s[sgprSrdD:sgprSrdD+3], 0, offen, offset:256,  sc0 sc1 // store D

s_waitcnt vmcnt(63)                                // wait C (interleaved) 119 = 120 - 11 + 11 - 1
v_lshlrev_b32 v4, 16, v34                          // convert bf16 to fp32
_v_mac_f32 v[vgprValuC+35], v4, s[sgprBeta]        // finalSum = sum*alpha + C*beta
v_cmp_u_f32 s[32:33], v[vgprValuC+35], v[vgprValuC+35] // check Nan
v_bfe_u32 v6, v[vgprValuC+35], 16, 1               // Non-Nan case: store lsb of bf16
v_add3_u32 v6, v[vgprValuC+35], v6, v9             // Non-Nan case: add lsb and the increment for rounding
v_cndmask_b32 v[vgprValuC+35], v6, v8, s[32:33]    // 
v_lshrrev_b32 v[vgprValuC+35], 16, v[vgprValuC+35] // convert C to bf16
_buffer_store_b16 v35, v10, s[sgprSrdD:sgprSrdD+3], 0, offen, offset:320,  sc0 sc1 // store D

s_waitcnt vmcnt(63)                                // wait C (interleaved) 119 = 120 - 12 + 12 - 1
v_lshlrev_b32 v4, 16, v36                          // convert bf16 to fp32
_v_mac_f32 v[vgprValuC+37], v4, s[sgprBeta]        // finalSum = sum*alpha + C*beta
v_cmp_u_f32 s[32:33], v[vgprValuC+37], v[vgprValuC+37] // check Nan
v_bfe_u32 v6, v[vgprValuC+37], 16, 1               // Non-Nan case: store lsb of bf16
v_add3_u32 v6, v[vgprValuC+37], v6, v9             // Non-Nan case: add lsb and the increment for rounding
v_cndmask_b32 v[vgprValuC+37], v6, v8, s[32:33]    // 
v_lshrrev_b32 v[vgprValuC+37], 16, v[vgprValuC+37] // convert C to bf16
s_lshl_b32  s32, s[sgprStrideD1J], 1               // incToNextRow: Scale by BPE
s_add_u32  s[sgprSrdD+0], s[sgprSrdD+0], s32       // incToNextRow: gra SRD += inc(lower)
s_addc_u32  s[sgprSrdD+1], s[sgprSrdD+1], 0        // incToNextRow: gra SRD += inc(upper)
_buffer_store_b16 v37, v10, s[sgprSrdD:sgprSrdD+3], 0, offen, offset:0,  sc0 sc1 // store D

s_waitcnt vmcnt(63)                                // wait C (interleaved) 119 = 120 - 13 + 13 - 1
v_lshlrev_b32 v4, 16, v38                          // convert bf16 to fp32
_v_mac_f32 v[vgprValuC+39], v4, s[sgprBeta]        // finalSum = sum*alpha + C*beta
v_cmp_u_f32 s[32:33], v[vgprValuC+39], v[vgprValuC+39] // check Nan
v_bfe_u32 v6, v[vgprValuC+39], 16, 1               // Non-Nan case: store lsb of bf16
v_add3_u32 v6, v[vgprValuC+39], v6, v9             // Non-Nan case: add lsb and the increment for rounding
v_cndmask_b32 v[vgprValuC+39], v6, v8, s[32:33]    // 
v_lshrrev_b32 v[vgprValuC+39], 16, v[vgprValuC+39] // convert C to bf16
_buffer_store_b16 v39, v10, s[sgprSrdD:sgprSrdD+3], 0, offen, offset:64,  sc0 sc1 // store D

s_waitcnt vmcnt(63)                                // wait C (interleaved) 119 = 120 - 14 + 14 - 1
v_lshlrev_b32 v4, 16, v40                          // convert bf16 to fp32
_v_mac_f32 v[vgprValuC+41], v4, s[sgprBeta]        // finalSum = sum*alpha + C*beta
v_cmp_u_f32 s[32:33], v[vgprValuC+41], v[vgprValuC+41] // check Nan
v_bfe_u32 v6, v[vgprValuC+41], 16, 1               // Non-Nan case: store lsb of bf16
v_add3_u32 v6, v[vgprValuC+41], v6, v9             // Non-Nan case: add lsb and the increment for rounding
v_cndmask_b32 v[vgprValuC+41], v6, v8, s[32:33]    // 
v_lshrrev_b32 v[vgprValuC+41], 16, v[vgprValuC+41] // convert C to bf16
_buffer_store_b16 v41, v10, s[sgprSrdD:sgprSrdD+3], 0, offen, offset:128,  sc0 sc1 // store D

s_waitcnt vmcnt(63)                                // wait C (interleaved) 119 = 120 - 15 + 15 - 1
v_lshlrev_b32 v4, 16, v42                          // convert bf16 to fp32
_v_mac_f32 v[vgprValuC+43], v4, s[sgprBeta]        // finalSum = sum*alpha + C*beta
v_cmp_u_f32 s[32:33], v[vgprValuC+43], v[vgprValuC+43] // check Nan
v_bfe_u32 v6, v[vgprValuC+43], 16, 1               // Non-Nan case: store lsb of bf16
v_add3_u32 v6, v[vgprValuC+43], v6, v9             // Non-Nan case: add lsb and the increment for rounding
v_cndmask_b32 v[vgprValuC+43], v6, v8, s[32:33]    // 
v_lshrrev_b32 v[vgprValuC+43], 16, v[vgprValuC+43] // convert C to bf16
_buffer_store_b16 v43, v10, s[sgprSrdD:sgprSrdD+3], 0, offen, offset:192,  sc0 sc1 // store D

s_waitcnt vmcnt(63)                                // wait C (interleaved) 119 = 120 - 16 + 16 - 1
v_lshlrev_b32 v4, 16, v44                          // convert bf16 to fp32
_v_mac_f32 v[vgprValuC+45], v4, s[sgprBeta]        // finalSum = sum*alpha + C*beta
v_cmp_u_f32 s[32:33], v[vgprValuC+45], v[vgprValuC+45] // check Nan
v_bfe_u32 v6, v[vgprValuC+45], 16, 1               // Non-Nan case: store lsb of bf16
v_add3_u32 v6, v[vgprValuC+45], v6, v9             // Non-Nan case: add lsb and the increment for rounding
v_cndmask_b32 v[vgprValuC+45], v6, v8, s[32:33]    // 
v_lshrrev_b32 v[vgprValuC+45], 16, v[vgprValuC+45] // convert C to bf16
_buffer_store_b16 v45, v10, s[sgprSrdD:sgprSrdD+3], 0, offen, offset:256,  sc0 sc1 // store D

s_waitcnt vmcnt(63)                                // wait C (interleaved) 119 = 120 - 17 + 17 - 1
v_lshlrev_b32 v4, 16, v46                          // convert bf16 to fp32
_v_mac_f32 v[vgprValuC+47], v4, s[sgprBeta]        // finalSum = sum*alpha + C*beta
v_cmp_u_f32 s[32:33], v[vgprValuC+47], v[vgprValuC+47] // check Nan
v_bfe_u32 v6, v[vgprValuC+47], 16, 1               // Non-Nan case: store lsb of bf16
v_add3_u32 v6, v[vgprValuC+47], v6, v9             // Non-Nan case: add lsb and the increment for rounding
v_cndmask_b32 v[vgprValuC+47], v6, v8, s[32:33]    // 
v_lshrrev_b32 v[vgprValuC+47], 16, v[vgprValuC+47] // convert C to bf16
_buffer_store_b16 v47, v10, s[sgprSrdD:sgprSrdD+3], 0, offen, offset:320,  sc0 sc1 // store D
	;; [unrolled: 63-line block ×3, first 2 shown]

s_waitcnt vmcnt(63)                                // wait C (interleaved) 119 = 120 - 24 + 24 - 1
v_lshlrev_b32 v4, 16, v60                          // convert bf16 to fp32
_v_mac_f32 v[vgprValuC+61], v4, s[sgprBeta]        // finalSum = sum*alpha + C*beta
v_cmp_u_f32 s[32:33], v[vgprValuC+61], v[vgprValuC+61] // check Nan
v_bfe_u32 v6, v[vgprValuC+61], 16, 1               // Non-Nan case: store lsb of bf16
v_add3_u32 v6, v[vgprValuC+61], v6, v9             // Non-Nan case: add lsb and the increment for rounding
v_cndmask_b32 v[vgprValuC+61], v6, v8, s[32:33]    // 
v_lshrrev_b32 v[vgprValuC+61], 16, v[vgprValuC+61] // convert C to bf16
s_mul_i32 s32, s[sgprStrideD1J], 58                // scale StrideD *= numRows(29) * bpe
s_add_u32  s[sgprSrdD+0], s[sgprSrdD+0], s32       // incToNextRow: gra SRD += inc(lower)
s_addc_u32  s[sgprSrdD+1], s[sgprSrdD+1], 0        // incToNextRow: gra SRD += inc(upper)
_buffer_store_b16 v61, v10, s[sgprSrdD:sgprSrdD+3], 0, offen, offset:0,  sc0 sc1 // store D

s_waitcnt vmcnt(63)                                // wait C (interleaved) 119 = 120 - 25 + 25 - 1
v_lshlrev_b32 v4, 16, v62                          // convert bf16 to fp32
_v_mac_f32 v[vgprValuC+63], v4, s[sgprBeta]        // finalSum = sum*alpha + C*beta
v_cmp_u_f32 s[32:33], v[vgprValuC+63], v[vgprValuC+63] // check Nan
v_bfe_u32 v6, v[vgprValuC+63], 16, 1               // Non-Nan case: store lsb of bf16
v_add3_u32 v6, v[vgprValuC+63], v6, v9             // Non-Nan case: add lsb and the increment for rounding
v_cndmask_b32 v[vgprValuC+63], v6, v8, s[32:33]    // 
v_lshrrev_b32 v[vgprValuC+63], 16, v[vgprValuC+63] // convert C to bf16
_buffer_store_b16 v63, v10, s[sgprSrdD:sgprSrdD+3], 0, offen, offset:64,  sc0 sc1 // store D

s_waitcnt vmcnt(63)                                // wait C (interleaved) 119 = 120 - 26 + 26 - 1
v_lshlrev_b32 v4, 16, v64                          // convert bf16 to fp32
_v_mac_f32 v[vgprValuC+65], v4, s[sgprBeta]        // finalSum = sum*alpha + C*beta
v_cmp_u_f32 s[32:33], v[vgprValuC+65], v[vgprValuC+65] // check Nan
v_bfe_u32 v6, v[vgprValuC+65], 16, 1               // Non-Nan case: store lsb of bf16
v_add3_u32 v6, v[vgprValuC+65], v6, v9             // Non-Nan case: add lsb and the increment for rounding
v_cndmask_b32 v[vgprValuC+65], v6, v8, s[32:33]    // 
v_lshrrev_b32 v[vgprValuC+65], 16, v[vgprValuC+65] // convert C to bf16
_buffer_store_b16 v65, v10, s[sgprSrdD:sgprSrdD+3], 0, offen, offset:128,  sc0 sc1 // store D

s_waitcnt vmcnt(63)                                // wait C (interleaved) 119 = 120 - 27 + 27 - 1
v_lshlrev_b32 v4, 16, v66                          // convert bf16 to fp32
_v_mac_f32 v[vgprValuC+67], v4, s[sgprBeta]        // finalSum = sum*alpha + C*beta
v_cmp_u_f32 s[32:33], v[vgprValuC+67], v[vgprValuC+67] // check Nan
v_bfe_u32 v6, v[vgprValuC+67], 16, 1               // Non-Nan case: store lsb of bf16
v_add3_u32 v6, v[vgprValuC+67], v6, v9             // Non-Nan case: add lsb and the increment for rounding
v_cndmask_b32 v[vgprValuC+67], v6, v8, s[32:33]    // 
v_lshrrev_b32 v[vgprValuC+67], 16, v[vgprValuC+67] // convert C to bf16
_buffer_store_b16 v67, v10, s[sgprSrdD:sgprSrdD+3], 0, offen, offset:192,  sc0 sc1 // store D

s_waitcnt vmcnt(63)                                // wait C (interleaved) 119 = 120 - 28 + 28 - 1
v_lshlrev_b32 v4, 16, v68                          // convert bf16 to fp32
_v_mac_f32 v[vgprValuC+69], v4, s[sgprBeta]        // finalSum = sum*alpha + C*beta
v_cmp_u_f32 s[32:33], v[vgprValuC+69], v[vgprValuC+69] // check Nan
v_bfe_u32 v6, v[vgprValuC+69], 16, 1               // Non-Nan case: store lsb of bf16
v_add3_u32 v6, v[vgprValuC+69], v6, v9             // Non-Nan case: add lsb and the increment for rounding
v_cndmask_b32 v[vgprValuC+69], v6, v8, s[32:33]    // 
v_lshrrev_b32 v[vgprValuC+69], 16, v[vgprValuC+69] // convert C to bf16
_buffer_store_b16 v69, v10, s[sgprSrdD:sgprSrdD+3], 0, offen, offset:256,  sc0 sc1 // store D

s_waitcnt vmcnt(63)                                // wait C (interleaved) 119 = 120 - 29 + 29 - 1
v_lshlrev_b32 v4, 16, v70                          // convert bf16 to fp32
_v_mac_f32 v[vgprValuC+71], v4, s[sgprBeta]        // finalSum = sum*alpha + C*beta
v_cmp_u_f32 s[32:33], v[vgprValuC+71], v[vgprValuC+71] // check Nan
v_bfe_u32 v6, v[vgprValuC+71], 16, 1               // Non-Nan case: store lsb of bf16
v_add3_u32 v6, v[vgprValuC+71], v6, v9             // Non-Nan case: add lsb and the increment for rounding
v_cndmask_b32 v[vgprValuC+71], v6, v8, s[32:33]    // 
v_lshrrev_b32 v[vgprValuC+71], 16, v[vgprValuC+71] // convert C to bf16
_buffer_store_b16 v71, v10, s[sgprSrdD:sgprSrdD+3], 0, offen, offset:320,  sc0 sc1 // store D

s_waitcnt vmcnt(63)                                // wait C (interleaved) 119 = 120 - 30 + 30 - 1
v_lshlrev_b32 v4, 16, v72                          // convert bf16 to fp32
_v_mac_f32 v[vgprValuC+73], v4, s[sgprBeta]        // finalSum = sum*alpha + C*beta
v_cmp_u_f32 s[32:33], v[vgprValuC+73], v[vgprValuC+73] // check Nan
v_bfe_u32 v6, v[vgprValuC+73], 16, 1               // Non-Nan case: store lsb of bf16
v_add3_u32 v6, v[vgprValuC+73], v6, v9             // Non-Nan case: add lsb and the increment for rounding
v_cndmask_b32 v[vgprValuC+73], v6, v8, s[32:33]    // 
v_lshrrev_b32 v[vgprValuC+73], 16, v[vgprValuC+73] // convert C to bf16
s_lshl_b32  s32, s[sgprStrideD1J], 1               // incToNextRow: Scale by BPE
s_add_u32  s[sgprSrdD+0], s[sgprSrdD+0], s32       // incToNextRow: gra SRD += inc(lower)
s_addc_u32  s[sgprSrdD+1], s[sgprSrdD+1], 0        // incToNextRow: gra SRD += inc(upper)
_buffer_store_b16 v73, v10, s[sgprSrdD:sgprSrdD+3], 0, offen, offset:0,  sc0 sc1 // store D

s_waitcnt vmcnt(63)                                // wait C (interleaved) 119 = 120 - 31 + 31 - 1
v_lshlrev_b32 v4, 16, v74                          // convert bf16 to fp32
_v_mac_f32 v[vgprValuC+75], v4, s[sgprBeta]        // finalSum = sum*alpha + C*beta
v_cmp_u_f32 s[32:33], v[vgprValuC+75], v[vgprValuC+75] // check Nan
v_bfe_u32 v6, v[vgprValuC+75], 16, 1               // Non-Nan case: store lsb of bf16
v_add3_u32 v6, v[vgprValuC+75], v6, v9             // Non-Nan case: add lsb and the increment for rounding
v_cndmask_b32 v[vgprValuC+75], v6, v8, s[32:33]    // 
v_lshrrev_b32 v[vgprValuC+75], 16, v[vgprValuC+75] // convert C to bf16
_buffer_store_b16 v75, v10, s[sgprSrdD:sgprSrdD+3], 0, offen, offset:64,  sc0 sc1 // store D

s_waitcnt vmcnt(63)                                // wait C (interleaved) 119 = 120 - 32 + 32 - 1
v_lshlrev_b32 v4, 16, v76                          // convert bf16 to fp32
_v_mac_f32 v[vgprValuC+77], v4, s[sgprBeta]        // finalSum = sum*alpha + C*beta
v_cmp_u_f32 s[32:33], v[vgprValuC+77], v[vgprValuC+77] // check Nan
v_bfe_u32 v6, v[vgprValuC+77], 16, 1               // Non-Nan case: store lsb of bf16
v_add3_u32 v6, v[vgprValuC+77], v6, v9             // Non-Nan case: add lsb and the increment for rounding
v_cndmask_b32 v[vgprValuC+77], v6, v8, s[32:33]    // 
v_lshrrev_b32 v[vgprValuC+77], 16, v[vgprValuC+77] // convert C to bf16
_buffer_store_b16 v77, v10, s[sgprSrdD:sgprSrdD+3], 0, offen, offset:128,  sc0 sc1 // store D

s_waitcnt vmcnt(63)                                // wait C (interleaved) 119 = 120 - 33 + 33 - 1
v_lshlrev_b32 v4, 16, v78                          // convert bf16 to fp32
_v_mac_f32 v[vgprValuC+79], v4, s[sgprBeta]        // finalSum = sum*alpha + C*beta
v_cmp_u_f32 s[32:33], v[vgprValuC+79], v[vgprValuC+79] // check Nan
v_bfe_u32 v6, v[vgprValuC+79], 16, 1               // Non-Nan case: store lsb of bf16
v_add3_u32 v6, v[vgprValuC+79], v6, v9             // Non-Nan case: add lsb and the increment for rounding
v_cndmask_b32 v[vgprValuC+79], v6, v8, s[32:33]    // 
v_lshrrev_b32 v[vgprValuC+79], 16, v[vgprValuC+79] // convert C to bf16
_buffer_store_b16 v79, v10, s[sgprSrdD:sgprSrdD+3], 0, offen, offset:192,  sc0 sc1 // store D

s_waitcnt vmcnt(63)                                // wait C (interleaved) 119 = 120 - 34 + 34 - 1
v_lshlrev_b32 v4, 16, v80                          // convert bf16 to fp32
_v_mac_f32 v[vgprValuC+81], v4, s[sgprBeta]        // finalSum = sum*alpha + C*beta
v_cmp_u_f32 s[32:33], v[vgprValuC+81], v[vgprValuC+81] // check Nan
v_bfe_u32 v6, v[vgprValuC+81], 16, 1               // Non-Nan case: store lsb of bf16
v_add3_u32 v6, v[vgprValuC+81], v6, v9             // Non-Nan case: add lsb and the increment for rounding
v_cndmask_b32 v[vgprValuC+81], v6, v8, s[32:33]    // 
v_lshrrev_b32 v[vgprValuC+81], 16, v[vgprValuC+81] // convert C to bf16
_buffer_store_b16 v81, v10, s[sgprSrdD:sgprSrdD+3], 0, offen, offset:256,  sc0 sc1 // store D

s_waitcnt vmcnt(63)                                // wait C (interleaved) 119 = 120 - 35 + 35 - 1
v_lshlrev_b32 v4, 16, v82                          // convert bf16 to fp32
_v_mac_f32 v[vgprValuC+83], v4, s[sgprBeta]        // finalSum = sum*alpha + C*beta
v_cmp_u_f32 s[32:33], v[vgprValuC+83], v[vgprValuC+83] // check Nan
v_bfe_u32 v6, v[vgprValuC+83], 16, 1               // Non-Nan case: store lsb of bf16
v_add3_u32 v6, v[vgprValuC+83], v6, v9             // Non-Nan case: add lsb and the increment for rounding
v_cndmask_b32 v[vgprValuC+83], v6, v8, s[32:33]    // 
v_lshrrev_b32 v[vgprValuC+83], 16, v[vgprValuC+83] // convert C to bf16
_buffer_store_b16 v83, v10, s[sgprSrdD:sgprSrdD+3], 0, offen, offset:320,  sc0 sc1 // store D

s_waitcnt vmcnt(63)                                // wait C (interleaved) 119 = 120 - 36 + 36 - 1
v_lshlrev_b32 v4, 16, v84                          // convert bf16 to fp32
_v_mac_f32 v[vgprValuC+85], v4, s[sgprBeta]        // finalSum = sum*alpha + C*beta
v_cmp_u_f32 s[32:33], v[vgprValuC+85], v[vgprValuC+85] // check Nan
v_bfe_u32 v6, v[vgprValuC+85], 16, 1               // Non-Nan case: store lsb of bf16
v_add3_u32 v6, v[vgprValuC+85], v6, v9             // Non-Nan case: add lsb and the increment for rounding
v_cndmask_b32 v[vgprValuC+85], v6, v8, s[32:33]    // 
v_lshrrev_b32 v[vgprValuC+85], 16, v[vgprValuC+85] // convert C to bf16
s_lshl_b32  s32, s[sgprStrideD1J], 1               // incToNextRow: Scale by BPE
	;; [unrolled: 63-line block ×3, first 2 shown]
s_add_u32  s[sgprSrdD+0], s[sgprSrdD+0], s32       // incToNextRow: gra SRD += inc(lower)
s_addc_u32  s[sgprSrdD+1], s[sgprSrdD+1], 0        // incToNextRow: gra SRD += inc(upper)
_buffer_store_b16 v97, v10, s[sgprSrdD:sgprSrdD+3], 0, offen, offset:0,  sc0 sc1 // store D

s_waitcnt vmcnt(63)                                // wait C (interleaved) 119 = 120 - 43 + 43 - 1
v_lshlrev_b32 v4, 16, v98                          // convert bf16 to fp32
_v_mac_f32 v[vgprValuC+99], v4, s[sgprBeta]        // finalSum = sum*alpha + C*beta
v_cmp_u_f32 s[32:33], v[vgprValuC+99], v[vgprValuC+99] // check Nan
v_bfe_u32 v6, v[vgprValuC+99], 16, 1               // Non-Nan case: store lsb of bf16
v_add3_u32 v6, v[vgprValuC+99], v6, v9             // Non-Nan case: add lsb and the increment for rounding
v_cndmask_b32 v[vgprValuC+99], v6, v8, s[32:33]    // 
v_lshrrev_b32 v[vgprValuC+99], 16, v[vgprValuC+99] // convert C to bf16
_buffer_store_b16 v99, v10, s[sgprSrdD:sgprSrdD+3], 0, offen, offset:64,  sc0 sc1 // store D

s_waitcnt vmcnt(63)                                // wait C (interleaved) 119 = 120 - 44 + 44 - 1
v_lshlrev_b32 v4, 16, v100                         // convert bf16 to fp32
_v_mac_f32 v[vgprValuC+101], v4, s[sgprBeta]       // finalSum = sum*alpha + C*beta
v_cmp_u_f32 s[32:33], v[vgprValuC+101], v[vgprValuC+101] // check Nan
v_bfe_u32 v6, v[vgprValuC+101], 16, 1              // Non-Nan case: store lsb of bf16
v_add3_u32 v6, v[vgprValuC+101], v6, v9            // Non-Nan case: add lsb and the increment for rounding
v_cndmask_b32 v[vgprValuC+101], v6, v8, s[32:33]   // 
v_lshrrev_b32 v[vgprValuC+101], 16, v[vgprValuC+101] // convert C to bf16
_buffer_store_b16 v101, v10, s[sgprSrdD:sgprSrdD+3], 0, offen, offset:128,  sc0 sc1 // store D

s_waitcnt vmcnt(63)                                // wait C (interleaved) 119 = 120 - 45 + 45 - 1
v_lshlrev_b32 v4, 16, v102                         // convert bf16 to fp32
_v_mac_f32 v[vgprValuC+103], v4, s[sgprBeta]       // finalSum = sum*alpha + C*beta
v_cmp_u_f32 s[32:33], v[vgprValuC+103], v[vgprValuC+103] // check Nan
v_bfe_u32 v6, v[vgprValuC+103], 16, 1              // Non-Nan case: store lsb of bf16
v_add3_u32 v6, v[vgprValuC+103], v6, v9            // Non-Nan case: add lsb and the increment for rounding
v_cndmask_b32 v[vgprValuC+103], v6, v8, s[32:33]   // 
	;; [unrolled: 10-line block ×5, first 2 shown]
v_lshrrev_b32 v[vgprValuC+109], 16, v[vgprValuC+109] // convert C to bf16
s_mul_i32 s32, s[sgprStrideD1J], 58                // scale StrideD *= numRows(29) * bpe
s_add_u32  s[sgprSrdD+0], s[sgprSrdD+0], s32       // incToNextRow: gra SRD += inc(lower)
s_addc_u32  s[sgprSrdD+1], s[sgprSrdD+1], 0        // incToNextRow: gra SRD += inc(upper)
_buffer_store_b16 v109, v10, s[sgprSrdD:sgprSrdD+3], 0, offen, offset:0,  sc0 sc1 // store D

s_waitcnt vmcnt(63)                                // wait C (interleaved) 119 = 120 - 49 + 49 - 1
v_lshlrev_b32 v4, 16, v110                         // convert bf16 to fp32
_v_mac_f32 v[vgprValuC+111], v4, s[sgprBeta]       // finalSum = sum*alpha + C*beta
v_cmp_u_f32 s[32:33], v[vgprValuC+111], v[vgprValuC+111] // check Nan
v_bfe_u32 v6, v[vgprValuC+111], 16, 1              // Non-Nan case: store lsb of bf16
v_add3_u32 v6, v[vgprValuC+111], v6, v9            // Non-Nan case: add lsb and the increment for rounding
v_cndmask_b32 v[vgprValuC+111], v6, v8, s[32:33]   // 
v_lshrrev_b32 v[vgprValuC+111], 16, v[vgprValuC+111] // convert C to bf16
_buffer_store_b16 v111, v10, s[sgprSrdD:sgprSrdD+3], 0, offen, offset:64,  sc0 sc1 // store D

s_waitcnt vmcnt(63)                                // wait C (interleaved) 119 = 120 - 50 + 50 - 1
v_lshlrev_b32 v4, 16, v112                         // convert bf16 to fp32
_v_mac_f32 v[vgprValuC+113], v4, s[sgprBeta]       // finalSum = sum*alpha + C*beta
v_cmp_u_f32 s[32:33], v[vgprValuC+113], v[vgprValuC+113] // check Nan
v_bfe_u32 v6, v[vgprValuC+113], 16, 1              // Non-Nan case: store lsb of bf16
v_add3_u32 v6, v[vgprValuC+113], v6, v9            // Non-Nan case: add lsb and the increment for rounding
v_cndmask_b32 v[vgprValuC+113], v6, v8, s[32:33]   // 
v_lshrrev_b32 v[vgprValuC+113], 16, v[vgprValuC+113] // convert C to bf16
_buffer_store_b16 v113, v10, s[sgprSrdD:sgprSrdD+3], 0, offen, offset:128,  sc0 sc1 // store D

s_waitcnt vmcnt(63)                                // wait C (interleaved) 119 = 120 - 51 + 51 - 1
v_lshlrev_b32 v4, 16, v114                         // convert bf16 to fp32
_v_mac_f32 v[vgprValuC+115], v4, s[sgprBeta]       // finalSum = sum*alpha + C*beta
v_cmp_u_f32 s[32:33], v[vgprValuC+115], v[vgprValuC+115] // check Nan
v_bfe_u32 v6, v[vgprValuC+115], 16, 1              // Non-Nan case: store lsb of bf16
v_add3_u32 v6, v[vgprValuC+115], v6, v9            // Non-Nan case: add lsb and the increment for rounding
v_cndmask_b32 v[vgprValuC+115], v6, v8, s[32:33]   // 
v_lshrrev_b32 v[vgprValuC+115], 16, v[vgprValuC+115] // convert C to bf16
_buffer_store_b16 v115, v10, s[sgprSrdD:sgprSrdD+3], 0, offen, offset:192,  sc0 sc1 // store D

s_waitcnt vmcnt(63)                                // wait C (interleaved) 119 = 120 - 52 + 52 - 1
v_lshlrev_b32 v4, 16, v116                         // convert bf16 to fp32
_v_mac_f32 v[vgprValuC+117], v4, s[sgprBeta]       // finalSum = sum*alpha + C*beta
v_cmp_u_f32 s[32:33], v[vgprValuC+117], v[vgprValuC+117] // check Nan
v_bfe_u32 v6, v[vgprValuC+117], 16, 1              // Non-Nan case: store lsb of bf16
v_add3_u32 v6, v[vgprValuC+117], v6, v9            // Non-Nan case: add lsb and the increment for rounding
v_cndmask_b32 v[vgprValuC+117], v6, v8, s[32:33]   // 
v_lshrrev_b32 v[vgprValuC+117], 16, v[vgprValuC+117] // convert C to bf16
_buffer_store_b16 v117, v10, s[sgprSrdD:sgprSrdD+3], 0, offen, offset:256,  sc0 sc1 // store D

s_waitcnt vmcnt(63)                                // wait C (interleaved) 119 = 120 - 53 + 53 - 1
v_lshlrev_b32 v4, 16, v118                         // convert bf16 to fp32
_v_mac_f32 v[vgprValuC+119], v4, s[sgprBeta]       // finalSum = sum*alpha + C*beta
v_cmp_u_f32 s[32:33], v[vgprValuC+119], v[vgprValuC+119] // check Nan
v_bfe_u32 v6, v[vgprValuC+119], 16, 1              // Non-Nan case: store lsb of bf16
v_add3_u32 v6, v[vgprValuC+119], v6, v9            // Non-Nan case: add lsb and the increment for rounding
v_cndmask_b32 v[vgprValuC+119], v6, v8, s[32:33]   // 
v_lshrrev_b32 v[vgprValuC+119], 16, v[vgprValuC+119] // convert C to bf16
_buffer_store_b16 v119, v10, s[sgprSrdD:sgprSrdD+3], 0, offen, offset:320,  sc0 sc1 // store D

s_waitcnt vmcnt(63)                                // wait C (interleaved) 119 = 120 - 54 + 54 - 1
v_lshlrev_b32 v4, 16, v120                         // convert bf16 to fp32
_v_mac_f32 v[vgprValuC+121], v4, s[sgprBeta]       // finalSum = sum*alpha + C*beta
v_cmp_u_f32 s[32:33], v[vgprValuC+121], v[vgprValuC+121] // check Nan
v_bfe_u32 v6, v[vgprValuC+121], 16, 1              // Non-Nan case: store lsb of bf16
v_add3_u32 v6, v[vgprValuC+121], v6, v9            // Non-Nan case: add lsb and the increment for rounding
v_cndmask_b32 v[vgprValuC+121], v6, v8, s[32:33]   // 
v_lshrrev_b32 v[vgprValuC+121], 16, v[vgprValuC+121] // convert C to bf16
s_lshl_b32  s32, s[sgprStrideD1J], 1               // incToNextRow: Scale by BPE
s_add_u32  s[sgprSrdD+0], s[sgprSrdD+0], s32       // incToNextRow: gra SRD += inc(lower)
s_addc_u32  s[sgprSrdD+1], s[sgprSrdD+1], 0        // incToNextRow: gra SRD += inc(upper)
_buffer_store_b16 v121, v10, s[sgprSrdD:sgprSrdD+3], 0, offen, offset:0,  sc0 sc1 // store D

s_waitcnt vmcnt(63)                                // wait C (interleaved) 119 = 120 - 55 + 55 - 1
v_lshlrev_b32 v4, 16, v122                         // convert bf16 to fp32
_v_mac_f32 v[vgprValuC+123], v4, s[sgprBeta]       // finalSum = sum*alpha + C*beta
v_cmp_u_f32 s[32:33], v[vgprValuC+123], v[vgprValuC+123] // check Nan
v_bfe_u32 v6, v[vgprValuC+123], 16, 1              // Non-Nan case: store lsb of bf16
v_add3_u32 v6, v[vgprValuC+123], v6, v9            // Non-Nan case: add lsb and the increment for rounding
v_cndmask_b32 v[vgprValuC+123], v6, v8, s[32:33]   // 
v_lshrrev_b32 v[vgprValuC+123], 16, v[vgprValuC+123] // convert C to bf16
_buffer_store_b16 v123, v10, s[sgprSrdD:sgprSrdD+3], 0, offen, offset:64,  sc0 sc1 // store D

s_waitcnt vmcnt(63)                                // wait C (interleaved) 119 = 120 - 56 + 56 - 1
v_lshlrev_b32 v4, 16, v124                         // convert bf16 to fp32
_v_mac_f32 v[vgprValuC+125], v4, s[sgprBeta]       // finalSum = sum*alpha + C*beta
v_cmp_u_f32 s[32:33], v[vgprValuC+125], v[vgprValuC+125] // check Nan
v_bfe_u32 v6, v[vgprValuC+125], 16, 1              // Non-Nan case: store lsb of bf16
v_add3_u32 v6, v[vgprValuC+125], v6, v9            // Non-Nan case: add lsb and the increment for rounding
v_cndmask_b32 v[vgprValuC+125], v6, v8, s[32:33]   // 
v_lshrrev_b32 v[vgprValuC+125], 16, v[vgprValuC+125] // convert C to bf16
_buffer_store_b16 v125, v10, s[sgprSrdD:sgprSrdD+3], 0, offen, offset:128,  sc0 sc1 // store D

s_waitcnt vmcnt(63)                                // wait C (interleaved) 119 = 120 - 57 + 57 - 1
v_lshlrev_b32 v4, 16, v126                         // convert bf16 to fp32
_v_mac_f32 v[vgprValuC+127], v4, s[sgprBeta]       // finalSum = sum*alpha + C*beta
v_cmp_u_f32 s[32:33], v[vgprValuC+127], v[vgprValuC+127] // check Nan
v_bfe_u32 v6, v[vgprValuC+127], 16, 1              // Non-Nan case: store lsb of bf16
v_add3_u32 v6, v[vgprValuC+127], v6, v9            // Non-Nan case: add lsb and the increment for rounding
v_cndmask_b32 v[vgprValuC+127], v6, v8, s[32:33]   // 
v_lshrrev_b32 v[vgprValuC+127], 16, v[vgprValuC+127] // convert C to bf16
_buffer_store_b16 v127, v10, s[sgprSrdD:sgprSrdD+3], 0, offen, offset:192,  sc0 sc1 // store D

s_waitcnt vmcnt(63)                                // wait C (interleaved) 119 = 120 - 58 + 58 - 1
v_lshlrev_b32 v4, 16, v128                         // convert bf16 to fp32
_v_mac_f32 v[vgprValuC+129], v4, s[sgprBeta]       // finalSum = sum*alpha + C*beta
v_cmp_u_f32 s[32:33], v[vgprValuC+129], v[vgprValuC+129] // check Nan
v_bfe_u32 v6, v[vgprValuC+129], 16, 1              // Non-Nan case: store lsb of bf16
v_add3_u32 v6, v[vgprValuC+129], v6, v9            // Non-Nan case: add lsb and the increment for rounding
v_cndmask_b32 v[vgprValuC+129], v6, v8, s[32:33]   // 
v_lshrrev_b32 v[vgprValuC+129], 16, v[vgprValuC+129] // convert C to bf16
_buffer_store_b16 v129, v10, s[sgprSrdD:sgprSrdD+3], 0, offen, offset:256,  sc0 sc1 // store D

s_waitcnt vmcnt(63)                                // wait C (interleaved) 119 = 120 - 59 + 59 - 1
v_lshlrev_b32 v4, 16, v130                         // convert bf16 to fp32
_v_mac_f32 v[vgprValuC+131], v4, s[sgprBeta]       // finalSum = sum*alpha + C*beta
v_cmp_u_f32 s[32:33], v[vgprValuC+131], v[vgprValuC+131] // check Nan
v_bfe_u32 v6, v[vgprValuC+131], 16, 1              // Non-Nan case: store lsb of bf16
v_add3_u32 v6, v[vgprValuC+131], v6, v9            // Non-Nan case: add lsb and the increment for rounding
v_cndmask_b32 v[vgprValuC+131], v6, v8, s[32:33]   // 
v_lshrrev_b32 v[vgprValuC+131], 16, v[vgprValuC+131] // convert C to bf16
_buffer_store_b16 v131, v10, s[sgprSrdD:sgprSrdD+3], 0, offen, offset:320,  sc0 sc1 // store D

s_waitcnt vmcnt(63)                                // wait C (interleaved) 119 = 120 - 60 + 60 - 1
v_lshlrev_b32 v4, 16, v132                         // convert bf16 to fp32
_v_mac_f32 v[vgprValuC+133], v4, s[sgprBeta]       // finalSum = sum*alpha + C*beta
v_cmp_u_f32 s[32:33], v[vgprValuC+133], v[vgprValuC+133] // check Nan
v_bfe_u32 v6, v[vgprValuC+133], 16, 1              // Non-Nan case: store lsb of bf16
v_add3_u32 v6, v[vgprValuC+133], v6, v9            // Non-Nan case: add lsb and the increment for rounding
v_cndmask_b32 v[vgprValuC+133], v6, v8, s[32:33]   // 
v_lshrrev_b32 v[vgprValuC+133], 16, v[vgprValuC+133] // convert C to bf16
s_lshl_b32  s32, s[sgprStrideD1J], 1               // incToNextRow: Scale by BPE
	;; [unrolled: 63-line block ×3, first 2 shown]
s_add_u32  s[sgprSrdD+0], s[sgprSrdD+0], s32       // incToNextRow: gra SRD += inc(lower)
s_addc_u32  s[sgprSrdD+1], s[sgprSrdD+1], 0        // incToNextRow: gra SRD += inc(upper)
_buffer_store_b16 v145, v10, s[sgprSrdD:sgprSrdD+3], 0, offen, offset:0,  sc0 sc1 // store D

s_waitcnt vmcnt(63)                                // wait C (interleaved) 119 = 120 - 67 + 67 - 1
v_lshlrev_b32 v4, 16, v146                         // convert bf16 to fp32
_v_mac_f32 v[vgprValuC+147], v4, s[sgprBeta]       // finalSum = sum*alpha + C*beta
v_cmp_u_f32 s[32:33], v[vgprValuC+147], v[vgprValuC+147] // check Nan
v_bfe_u32 v6, v[vgprValuC+147], 16, 1              // Non-Nan case: store lsb of bf16
v_add3_u32 v6, v[vgprValuC+147], v6, v9            // Non-Nan case: add lsb and the increment for rounding
v_cndmask_b32 v[vgprValuC+147], v6, v8, s[32:33]   // 
v_lshrrev_b32 v[vgprValuC+147], 16, v[vgprValuC+147] // convert C to bf16
_buffer_store_b16 v147, v10, s[sgprSrdD:sgprSrdD+3], 0, offen, offset:64,  sc0 sc1 // store D

s_waitcnt vmcnt(63)                                // wait C (interleaved) 119 = 120 - 68 + 68 - 1
v_lshlrev_b32 v4, 16, v148                         // convert bf16 to fp32
_v_mac_f32 v[vgprValuC+149], v4, s[sgprBeta]       // finalSum = sum*alpha + C*beta
v_cmp_u_f32 s[32:33], v[vgprValuC+149], v[vgprValuC+149] // check Nan
v_bfe_u32 v6, v[vgprValuC+149], 16, 1              // Non-Nan case: store lsb of bf16
v_add3_u32 v6, v[vgprValuC+149], v6, v9            // Non-Nan case: add lsb and the increment for rounding
v_cndmask_b32 v[vgprValuC+149], v6, v8, s[32:33]   // 
v_lshrrev_b32 v[vgprValuC+149], 16, v[vgprValuC+149] // convert C to bf16
	;; [unrolled: 10-line block ×6, first 2 shown]
s_mul_i32 s32, s[sgprStrideD1J], 58                // scale StrideD *= numRows(29) * bpe
s_add_u32  s[sgprSrdD+0], s[sgprSrdD+0], s32       // incToNextRow: gra SRD += inc(lower)
s_addc_u32  s[sgprSrdD+1], s[sgprSrdD+1], 0        // incToNextRow: gra SRD += inc(upper)
_buffer_store_b16 v157, v10, s[sgprSrdD:sgprSrdD+3], 0, offen, offset:0,  sc0 sc1 // store D

s_waitcnt vmcnt(63)                                // wait C (interleaved) 119 = 120 - 73 + 73 - 1
v_lshlrev_b32 v4, 16, v158                         // convert bf16 to fp32
_v_mac_f32 v[vgprValuC+159], v4, s[sgprBeta]       // finalSum = sum*alpha + C*beta
v_cmp_u_f32 s[32:33], v[vgprValuC+159], v[vgprValuC+159] // check Nan
v_bfe_u32 v6, v[vgprValuC+159], 16, 1              // Non-Nan case: store lsb of bf16
v_add3_u32 v6, v[vgprValuC+159], v6, v9            // Non-Nan case: add lsb and the increment for rounding
v_cndmask_b32 v[vgprValuC+159], v6, v8, s[32:33]   // 
v_lshrrev_b32 v[vgprValuC+159], 16, v[vgprValuC+159] // convert C to bf16
_buffer_store_b16 v159, v10, s[sgprSrdD:sgprSrdD+3], 0, offen, offset:64,  sc0 sc1 // store D

s_waitcnt vmcnt(63)                                // wait C (interleaved) 119 = 120 - 74 + 74 - 1
v_lshlrev_b32 v4, 16, v160                         // convert bf16 to fp32
_v_mac_f32 v[vgprValuC+161], v4, s[sgprBeta]       // finalSum = sum*alpha + C*beta
v_cmp_u_f32 s[32:33], v[vgprValuC+161], v[vgprValuC+161] // check Nan
v_bfe_u32 v6, v[vgprValuC+161], 16, 1              // Non-Nan case: store lsb of bf16
v_add3_u32 v6, v[vgprValuC+161], v6, v9            // Non-Nan case: add lsb and the increment for rounding
v_cndmask_b32 v[vgprValuC+161], v6, v8, s[32:33]   // 
v_lshrrev_b32 v[vgprValuC+161], 16, v[vgprValuC+161] // convert C to bf16
_buffer_store_b16 v161, v10, s[sgprSrdD:sgprSrdD+3], 0, offen, offset:128,  sc0 sc1 // store D

s_waitcnt vmcnt(63)                                // wait C (interleaved) 119 = 120 - 75 + 75 - 1
v_lshlrev_b32 v4, 16, v162                         // convert bf16 to fp32
_v_mac_f32 v[vgprValuC+163], v4, s[sgprBeta]       // finalSum = sum*alpha + C*beta
v_cmp_u_f32 s[32:33], v[vgprValuC+163], v[vgprValuC+163] // check Nan
v_bfe_u32 v6, v[vgprValuC+163], 16, 1              // Non-Nan case: store lsb of bf16
v_add3_u32 v6, v[vgprValuC+163], v6, v9            // Non-Nan case: add lsb and the increment for rounding
v_cndmask_b32 v[vgprValuC+163], v6, v8, s[32:33]   // 
v_lshrrev_b32 v[vgprValuC+163], 16, v[vgprValuC+163] // convert C to bf16
_buffer_store_b16 v163, v10, s[sgprSrdD:sgprSrdD+3], 0, offen, offset:192,  sc0 sc1 // store D

s_waitcnt vmcnt(63)                                // wait C (interleaved) 119 = 120 - 76 + 76 - 1
v_lshlrev_b32 v4, 16, v164                         // convert bf16 to fp32
_v_mac_f32 v[vgprValuC+165], v4, s[sgprBeta]       // finalSum = sum*alpha + C*beta
v_cmp_u_f32 s[32:33], v[vgprValuC+165], v[vgprValuC+165] // check Nan
v_bfe_u32 v6, v[vgprValuC+165], 16, 1              // Non-Nan case: store lsb of bf16
v_add3_u32 v6, v[vgprValuC+165], v6, v9            // Non-Nan case: add lsb and the increment for rounding
v_cndmask_b32 v[vgprValuC+165], v6, v8, s[32:33]   // 
v_lshrrev_b32 v[vgprValuC+165], 16, v[vgprValuC+165] // convert C to bf16
_buffer_store_b16 v165, v10, s[sgprSrdD:sgprSrdD+3], 0, offen, offset:256,  sc0 sc1 // store D

s_waitcnt vmcnt(63)                                // wait C (interleaved) 119 = 120 - 77 + 77 - 1
v_lshlrev_b32 v4, 16, v166                         // convert bf16 to fp32
_v_mac_f32 v[vgprValuC+167], v4, s[sgprBeta]       // finalSum = sum*alpha + C*beta
v_cmp_u_f32 s[32:33], v[vgprValuC+167], v[vgprValuC+167] // check Nan
v_bfe_u32 v6, v[vgprValuC+167], 16, 1              // Non-Nan case: store lsb of bf16
v_add3_u32 v6, v[vgprValuC+167], v6, v9            // Non-Nan case: add lsb and the increment for rounding
v_cndmask_b32 v[vgprValuC+167], v6, v8, s[32:33]   // 
v_lshrrev_b32 v[vgprValuC+167], 16, v[vgprValuC+167] // convert C to bf16
_buffer_store_b16 v167, v10, s[sgprSrdD:sgprSrdD+3], 0, offen, offset:320,  sc0 sc1 // store D

s_waitcnt vmcnt(63)                                // wait C (interleaved) 119 = 120 - 78 + 78 - 1
v_lshlrev_b32 v4, 16, v168                         // convert bf16 to fp32
_v_mac_f32 v[vgprValuC+169], v4, s[sgprBeta]       // finalSum = sum*alpha + C*beta
v_cmp_u_f32 s[32:33], v[vgprValuC+169], v[vgprValuC+169] // check Nan
v_bfe_u32 v6, v[vgprValuC+169], 16, 1              // Non-Nan case: store lsb of bf16
v_add3_u32 v6, v[vgprValuC+169], v6, v9            // Non-Nan case: add lsb and the increment for rounding
v_cndmask_b32 v[vgprValuC+169], v6, v8, s[32:33]   // 
v_lshrrev_b32 v[vgprValuC+169], 16, v[vgprValuC+169] // convert C to bf16
s_lshl_b32  s32, s[sgprStrideD1J], 1               // incToNextRow: Scale by BPE
s_add_u32  s[sgprSrdD+0], s[sgprSrdD+0], s32       // incToNextRow: gra SRD += inc(lower)
s_addc_u32  s[sgprSrdD+1], s[sgprSrdD+1], 0        // incToNextRow: gra SRD += inc(upper)
_buffer_store_b16 v169, v10, s[sgprSrdD:sgprSrdD+3], 0, offen, offset:0,  sc0 sc1 // store D

s_waitcnt vmcnt(63)                                // wait C (interleaved) 119 = 120 - 79 + 79 - 1
v_lshlrev_b32 v4, 16, v170                         // convert bf16 to fp32
_v_mac_f32 v[vgprValuC+171], v4, s[sgprBeta]       // finalSum = sum*alpha + C*beta
v_cmp_u_f32 s[32:33], v[vgprValuC+171], v[vgprValuC+171] // check Nan
v_bfe_u32 v6, v[vgprValuC+171], 16, 1              // Non-Nan case: store lsb of bf16
v_add3_u32 v6, v[vgprValuC+171], v6, v9            // Non-Nan case: add lsb and the increment for rounding
v_cndmask_b32 v[vgprValuC+171], v6, v8, s[32:33]   // 
v_lshrrev_b32 v[vgprValuC+171], 16, v[vgprValuC+171] // convert C to bf16
_buffer_store_b16 v171, v10, s[sgprSrdD:sgprSrdD+3], 0, offen, offset:64,  sc0 sc1 // store D

s_waitcnt vmcnt(63)                                // wait C (interleaved) 119 = 120 - 80 + 80 - 1
v_lshlrev_b32 v4, 16, v175                         // convert bf16 to fp32
_v_mac_f32 v[vgprValuC+176], v4, s[sgprBeta]       // finalSum = sum*alpha + C*beta
v_cmp_u_f32 s[32:33], v[vgprValuC+176], v[vgprValuC+176] // check Nan
v_bfe_u32 v6, v[vgprValuC+176], 16, 1              // Non-Nan case: store lsb of bf16
v_add3_u32 v6, v[vgprValuC+176], v6, v9            // Non-Nan case: add lsb and the increment for rounding
v_cndmask_b32 v[vgprValuC+176], v6, v8, s[32:33]   // 
v_lshrrev_b32 v[vgprValuC+176], 16, v[vgprValuC+176] // convert C to bf16
_buffer_store_b16 v176, v10, s[sgprSrdD:sgprSrdD+3], 0, offen, offset:128,  sc0 sc1 // store D

s_waitcnt vmcnt(63)                                // wait C (interleaved) 119 = 120 - 81 + 81 - 1
v_lshlrev_b32 v4, 16, v177                         // convert bf16 to fp32
_v_mac_f32 v[vgprValuC+178], v4, s[sgprBeta]       // finalSum = sum*alpha + C*beta
v_cmp_u_f32 s[32:33], v[vgprValuC+178], v[vgprValuC+178] // check Nan
v_bfe_u32 v6, v[vgprValuC+178], 16, 1              // Non-Nan case: store lsb of bf16
v_add3_u32 v6, v[vgprValuC+178], v6, v9            // Non-Nan case: add lsb and the increment for rounding
v_cndmask_b32 v[vgprValuC+178], v6, v8, s[32:33]   // 
v_lshrrev_b32 v[vgprValuC+178], 16, v[vgprValuC+178] // convert C to bf16
_buffer_store_b16 v178, v10, s[sgprSrdD:sgprSrdD+3], 0, offen, offset:192,  sc0 sc1 // store D

s_waitcnt vmcnt(63)                                // wait C (interleaved) 119 = 120 - 82 + 82 - 1
v_lshlrev_b32 v4, 16, v179                         // convert bf16 to fp32
_v_mac_f32 v[vgprValuC+180], v4, s[sgprBeta]       // finalSum = sum*alpha + C*beta
v_cmp_u_f32 s[32:33], v[vgprValuC+180], v[vgprValuC+180] // check Nan
v_bfe_u32 v6, v[vgprValuC+180], 16, 1              // Non-Nan case: store lsb of bf16
v_add3_u32 v6, v[vgprValuC+180], v6, v9            // Non-Nan case: add lsb and the increment for rounding
v_cndmask_b32 v[vgprValuC+180], v6, v8, s[32:33]   // 
v_lshrrev_b32 v[vgprValuC+180], 16, v[vgprValuC+180] // convert C to bf16
_buffer_store_b16 v180, v10, s[sgprSrdD:sgprSrdD+3], 0, offen, offset:256,  sc0 sc1 // store D

s_waitcnt vmcnt(63)                                // wait C (interleaved) 119 = 120 - 83 + 83 - 1
v_lshlrev_b32 v4, 16, v181                         // convert bf16 to fp32
_v_mac_f32 v[vgprValuC+182], v4, s[sgprBeta]       // finalSum = sum*alpha + C*beta
v_cmp_u_f32 s[32:33], v[vgprValuC+182], v[vgprValuC+182] // check Nan
v_bfe_u32 v6, v[vgprValuC+182], 16, 1              // Non-Nan case: store lsb of bf16
v_add3_u32 v6, v[vgprValuC+182], v6, v9            // Non-Nan case: add lsb and the increment for rounding
v_cndmask_b32 v[vgprValuC+182], v6, v8, s[32:33]   // 
v_lshrrev_b32 v[vgprValuC+182], 16, v[vgprValuC+182] // convert C to bf16
_buffer_store_b16 v182, v10, s[sgprSrdD:sgprSrdD+3], 0, offen, offset:320,  sc0 sc1 // store D

s_waitcnt vmcnt(63)                                // wait C (interleaved) 119 = 120 - 84 + 84 - 1
v_lshlrev_b32 v4, 16, v183                         // convert bf16 to fp32
_v_mac_f32 v[vgprValuC+184], v4, s[sgprBeta]       // finalSum = sum*alpha + C*beta
v_cmp_u_f32 s[32:33], v[vgprValuC+184], v[vgprValuC+184] // check Nan
v_bfe_u32 v6, v[vgprValuC+184], 16, 1              // Non-Nan case: store lsb of bf16
v_add3_u32 v6, v[vgprValuC+184], v6, v9            // Non-Nan case: add lsb and the increment for rounding
v_cndmask_b32 v[vgprValuC+184], v6, v8, s[32:33]   // 
v_lshrrev_b32 v[vgprValuC+184], 16, v[vgprValuC+184] // convert C to bf16
s_lshl_b32  s32, s[sgprStrideD1J], 1               // incToNextRow: Scale by BPE
	;; [unrolled: 63-line block ×3, first 2 shown]
s_add_u32  s[sgprSrdD+0], s[sgprSrdD+0], s32       // incToNextRow: gra SRD += inc(lower)
s_addc_u32  s[sgprSrdD+1], s[sgprSrdD+1], 0        // incToNextRow: gra SRD += inc(upper)
_buffer_store_b16 v196, v10, s[sgprSrdD:sgprSrdD+3], 0, offen, offset:0,  sc0 sc1 // store D

s_waitcnt vmcnt(63)                                // wait C (interleaved) 119 = 120 - 91 + 91 - 1
v_lshlrev_b32 v4, 16, v197                         // convert bf16 to fp32
_v_mac_f32 v[vgprValuC+198], v4, s[sgprBeta]       // finalSum = sum*alpha + C*beta
v_cmp_u_f32 s[32:33], v[vgprValuC+198], v[vgprValuC+198] // check Nan
v_bfe_u32 v6, v[vgprValuC+198], 16, 1              // Non-Nan case: store lsb of bf16
v_add3_u32 v6, v[vgprValuC+198], v6, v9            // Non-Nan case: add lsb and the increment for rounding
v_cndmask_b32 v[vgprValuC+198], v6, v8, s[32:33]   // 
v_lshrrev_b32 v[vgprValuC+198], 16, v[vgprValuC+198] // convert C to bf16
_buffer_store_b16 v198, v10, s[sgprSrdD:sgprSrdD+3], 0, offen, offset:64,  sc0 sc1 // store D

s_waitcnt vmcnt(63)                                // wait C (interleaved) 119 = 120 - 92 + 92 - 1
v_lshlrev_b32 v4, 16, v199                         // convert bf16 to fp32
_v_mac_f32 v[vgprValuC+200], v4, s[sgprBeta]       // finalSum = sum*alpha + C*beta
v_cmp_u_f32 s[32:33], v[vgprValuC+200], v[vgprValuC+200] // check Nan
v_bfe_u32 v6, v[vgprValuC+200], 16, 1              // Non-Nan case: store lsb of bf16
v_add3_u32 v6, v[vgprValuC+200], v6, v9            // Non-Nan case: add lsb and the increment for rounding
v_cndmask_b32 v[vgprValuC+200], v6, v8, s[32:33]   // 
v_lshrrev_b32 v[vgprValuC+200], 16, v[vgprValuC+200] // convert C to bf16
	;; [unrolled: 10-line block ×6, first 2 shown]
s_mul_i32 s32, s[sgprStrideD1J], 58                // scale StrideD *= numRows(29) * bpe
s_add_u32  s[sgprSrdD+0], s[sgprSrdD+0], s32       // incToNextRow: gra SRD += inc(lower)
s_addc_u32  s[sgprSrdD+1], s[sgprSrdD+1], 0        // incToNextRow: gra SRD += inc(upper)
_buffer_store_b16 v208, v10, s[sgprSrdD:sgprSrdD+3], 0, offen, offset:0,  sc0 sc1 // store D

s_waitcnt vmcnt(63)                                // wait C (interleaved) 119 = 120 - 97 + 97 - 1
v_lshlrev_b32 v4, 16, v209                         // convert bf16 to fp32
_v_mac_f32 v[vgprValuC+210], v4, s[sgprBeta]       // finalSum = sum*alpha + C*beta
v_cmp_u_f32 s[32:33], v[vgprValuC+210], v[vgprValuC+210] // check Nan
v_bfe_u32 v6, v[vgprValuC+210], 16, 1              // Non-Nan case: store lsb of bf16
v_add3_u32 v6, v[vgprValuC+210], v6, v9            // Non-Nan case: add lsb and the increment for rounding
v_cndmask_b32 v[vgprValuC+210], v6, v8, s[32:33]   // 
v_lshrrev_b32 v[vgprValuC+210], 16, v[vgprValuC+210] // convert C to bf16
_buffer_store_b16 v210, v10, s[sgprSrdD:sgprSrdD+3], 0, offen, offset:64,  sc0 sc1 // store D

s_waitcnt vmcnt(63)                                // wait C (interleaved) 119 = 120 - 98 + 98 - 1
v_lshlrev_b32 v4, 16, v211                         // convert bf16 to fp32
_v_mac_f32 v[vgprValuC+212], v4, s[sgprBeta]       // finalSum = sum*alpha + C*beta
v_cmp_u_f32 s[32:33], v[vgprValuC+212], v[vgprValuC+212] // check Nan
v_bfe_u32 v6, v[vgprValuC+212], 16, 1              // Non-Nan case: store lsb of bf16
v_add3_u32 v6, v[vgprValuC+212], v6, v9            // Non-Nan case: add lsb and the increment for rounding
v_cndmask_b32 v[vgprValuC+212], v6, v8, s[32:33]   // 
v_lshrrev_b32 v[vgprValuC+212], 16, v[vgprValuC+212] // convert C to bf16
_buffer_store_b16 v212, v10, s[sgprSrdD:sgprSrdD+3], 0, offen, offset:128,  sc0 sc1 // store D

s_waitcnt vmcnt(63)                                // wait C (interleaved) 119 = 120 - 99 + 99 - 1
v_lshlrev_b32 v4, 16, v213                         // convert bf16 to fp32
_v_mac_f32 v[vgprValuC+214], v4, s[sgprBeta]       // finalSum = sum*alpha + C*beta
v_cmp_u_f32 s[32:33], v[vgprValuC+214], v[vgprValuC+214] // check Nan
v_bfe_u32 v6, v[vgprValuC+214], 16, 1              // Non-Nan case: store lsb of bf16
v_add3_u32 v6, v[vgprValuC+214], v6, v9            // Non-Nan case: add lsb and the increment for rounding
v_cndmask_b32 v[vgprValuC+214], v6, v8, s[32:33]   // 
v_lshrrev_b32 v[vgprValuC+214], 16, v[vgprValuC+214] // convert C to bf16
_buffer_store_b16 v214, v10, s[sgprSrdD:sgprSrdD+3], 0, offen, offset:192,  sc0 sc1 // store D

s_waitcnt vmcnt(63)                                // wait C (interleaved) 119 = 120 - 100 + 100 - 1
v_lshlrev_b32 v4, 16, v215                         // convert bf16 to fp32
_v_mac_f32 v[vgprValuC+216], v4, s[sgprBeta]       // finalSum = sum*alpha + C*beta
v_cmp_u_f32 s[32:33], v[vgprValuC+216], v[vgprValuC+216] // check Nan
v_bfe_u32 v6, v[vgprValuC+216], 16, 1              // Non-Nan case: store lsb of bf16
v_add3_u32 v6, v[vgprValuC+216], v6, v9            // Non-Nan case: add lsb and the increment for rounding
v_cndmask_b32 v[vgprValuC+216], v6, v8, s[32:33]   // 
v_lshrrev_b32 v[vgprValuC+216], 16, v[vgprValuC+216] // convert C to bf16
_buffer_store_b16 v216, v10, s[sgprSrdD:sgprSrdD+3], 0, offen, offset:256,  sc0 sc1 // store D

s_waitcnt vmcnt(63)                                // wait C (interleaved) 119 = 120 - 101 + 101 - 1
v_lshlrev_b32 v4, 16, v217                         // convert bf16 to fp32
_v_mac_f32 v[vgprValuC+218], v4, s[sgprBeta]       // finalSum = sum*alpha + C*beta
v_cmp_u_f32 s[32:33], v[vgprValuC+218], v[vgprValuC+218] // check Nan
v_bfe_u32 v6, v[vgprValuC+218], 16, 1              // Non-Nan case: store lsb of bf16
v_add3_u32 v6, v[vgprValuC+218], v6, v9            // Non-Nan case: add lsb and the increment for rounding
v_cndmask_b32 v[vgprValuC+218], v6, v8, s[32:33]   // 
v_lshrrev_b32 v[vgprValuC+218], 16, v[vgprValuC+218] // convert C to bf16
_buffer_store_b16 v218, v10, s[sgprSrdD:sgprSrdD+3], 0, offen, offset:320,  sc0 sc1 // store D

s_waitcnt vmcnt(63)                                // wait C (interleaved) 119 = 120 - 102 + 102 - 1
v_lshlrev_b32 v4, 16, v219                         // convert bf16 to fp32
_v_mac_f32 v[vgprValuC+220], v4, s[sgprBeta]       // finalSum = sum*alpha + C*beta
v_cmp_u_f32 s[32:33], v[vgprValuC+220], v[vgprValuC+220] // check Nan
v_bfe_u32 v6, v[vgprValuC+220], 16, 1              // Non-Nan case: store lsb of bf16
v_add3_u32 v6, v[vgprValuC+220], v6, v9            // Non-Nan case: add lsb and the increment for rounding
v_cndmask_b32 v[vgprValuC+220], v6, v8, s[32:33]   // 
v_lshrrev_b32 v[vgprValuC+220], 16, v[vgprValuC+220] // convert C to bf16
s_lshl_b32  s32, s[sgprStrideD1J], 1               // incToNextRow: Scale by BPE
s_add_u32  s[sgprSrdD+0], s[sgprSrdD+0], s32       // incToNextRow: gra SRD += inc(lower)
s_addc_u32  s[sgprSrdD+1], s[sgprSrdD+1], 0        // incToNextRow: gra SRD += inc(upper)
_buffer_store_b16 v220, v10, s[sgprSrdD:sgprSrdD+3], 0, offen, offset:0,  sc0 sc1 // store D

s_waitcnt vmcnt(63)                                // wait C (interleaved) 119 = 120 - 103 + 103 - 1
v_lshlrev_b32 v4, 16, v221                         // convert bf16 to fp32
_v_mac_f32 v[vgprValuC+222], v4, s[sgprBeta]       // finalSum = sum*alpha + C*beta
v_cmp_u_f32 s[32:33], v[vgprValuC+222], v[vgprValuC+222] // check Nan
v_bfe_u32 v6, v[vgprValuC+222], 16, 1              // Non-Nan case: store lsb of bf16
v_add3_u32 v6, v[vgprValuC+222], v6, v9            // Non-Nan case: add lsb and the increment for rounding
v_cndmask_b32 v[vgprValuC+222], v6, v8, s[32:33]   // 
v_lshrrev_b32 v[vgprValuC+222], 16, v[vgprValuC+222] // convert C to bf16
_buffer_store_b16 v222, v10, s[sgprSrdD:sgprSrdD+3], 0, offen, offset:64,  sc0 sc1 // store D

s_waitcnt vmcnt(63)                                // wait C (interleaved) 119 = 120 - 104 + 104 - 1
v_lshlrev_b32 v4, 16, v223                         // convert bf16 to fp32
_v_mac_f32 v[vgprValuC+224], v4, s[sgprBeta]       // finalSum = sum*alpha + C*beta
v_cmp_u_f32 s[32:33], v[vgprValuC+224], v[vgprValuC+224] // check Nan
v_bfe_u32 v6, v[vgprValuC+224], 16, 1              // Non-Nan case: store lsb of bf16
v_add3_u32 v6, v[vgprValuC+224], v6, v9            // Non-Nan case: add lsb and the increment for rounding
v_cndmask_b32 v[vgprValuC+224], v6, v8, s[32:33]   // 
v_lshrrev_b32 v[vgprValuC+224], 16, v[vgprValuC+224] // convert C to bf16
_buffer_store_b16 v224, v10, s[sgprSrdD:sgprSrdD+3], 0, offen, offset:128,  sc0 sc1 // store D

s_waitcnt vmcnt(63)                                // wait C (interleaved) 119 = 120 - 105 + 105 - 1
v_lshlrev_b32 v4, 16, v225                         // convert bf16 to fp32
_v_mac_f32 v[vgprValuC+226], v4, s[sgprBeta]       // finalSum = sum*alpha + C*beta
v_cmp_u_f32 s[32:33], v[vgprValuC+226], v[vgprValuC+226] // check Nan
v_bfe_u32 v6, v[vgprValuC+226], 16, 1              // Non-Nan case: store lsb of bf16
v_add3_u32 v6, v[vgprValuC+226], v6, v9            // Non-Nan case: add lsb and the increment for rounding
v_cndmask_b32 v[vgprValuC+226], v6, v8, s[32:33]   // 
v_lshrrev_b32 v[vgprValuC+226], 16, v[vgprValuC+226] // convert C to bf16
_buffer_store_b16 v226, v10, s[sgprSrdD:sgprSrdD+3], 0, offen, offset:192,  sc0 sc1 // store D

s_waitcnt vmcnt(63)                                // wait C (interleaved) 119 = 120 - 106 + 106 - 1
v_lshlrev_b32 v4, 16, v227                         // convert bf16 to fp32
_v_mac_f32 v[vgprValuC+228], v4, s[sgprBeta]       // finalSum = sum*alpha + C*beta
v_cmp_u_f32 s[32:33], v[vgprValuC+228], v[vgprValuC+228] // check Nan
v_bfe_u32 v6, v[vgprValuC+228], 16, 1              // Non-Nan case: store lsb of bf16
v_add3_u32 v6, v[vgprValuC+228], v6, v9            // Non-Nan case: add lsb and the increment for rounding
v_cndmask_b32 v[vgprValuC+228], v6, v8, s[32:33]   // 
v_lshrrev_b32 v[vgprValuC+228], 16, v[vgprValuC+228] // convert C to bf16
_buffer_store_b16 v228, v10, s[sgprSrdD:sgprSrdD+3], 0, offen, offset:256,  sc0 sc1 // store D

s_waitcnt vmcnt(63)                                // wait C (interleaved) 119 = 120 - 107 + 107 - 1
v_lshlrev_b32 v4, 16, v229                         // convert bf16 to fp32
_v_mac_f32 v[vgprValuC+230], v4, s[sgprBeta]       // finalSum = sum*alpha + C*beta
v_cmp_u_f32 s[32:33], v[vgprValuC+230], v[vgprValuC+230] // check Nan
v_bfe_u32 v6, v[vgprValuC+230], 16, 1              // Non-Nan case: store lsb of bf16
v_add3_u32 v6, v[vgprValuC+230], v6, v9            // Non-Nan case: add lsb and the increment for rounding
v_cndmask_b32 v[vgprValuC+230], v6, v8, s[32:33]   // 
v_lshrrev_b32 v[vgprValuC+230], 16, v[vgprValuC+230] // convert C to bf16
_buffer_store_b16 v230, v10, s[sgprSrdD:sgprSrdD+3], 0, offen, offset:320,  sc0 sc1 // store D

s_waitcnt vmcnt(63)                                // wait C (interleaved) 119 = 120 - 108 + 108 - 1
v_lshlrev_b32 v4, 16, v231                         // convert bf16 to fp32
_v_mac_f32 v[vgprValuC+232], v4, s[sgprBeta]       // finalSum = sum*alpha + C*beta
v_cmp_u_f32 s[32:33], v[vgprValuC+232], v[vgprValuC+232] // check Nan
v_bfe_u32 v6, v[vgprValuC+232], 16, 1              // Non-Nan case: store lsb of bf16
v_add3_u32 v6, v[vgprValuC+232], v6, v9            // Non-Nan case: add lsb and the increment for rounding
v_cndmask_b32 v[vgprValuC+232], v6, v8, s[32:33]   // 
v_lshrrev_b32 v[vgprValuC+232], 16, v[vgprValuC+232] // convert C to bf16
s_lshl_b32  s32, s[sgprStrideD1J], 1               // incToNextRow: Scale by BPE
	;; [unrolled: 63-line block ×3, first 2 shown]
s_add_u32  s[sgprSrdD+0], s[sgprSrdD+0], s32       // incToNextRow: gra SRD += inc(lower)
s_addc_u32  s[sgprSrdD+1], s[sgprSrdD+1], 0        // incToNextRow: gra SRD += inc(upper)
_buffer_store_b16 v244, v10, s[sgprSrdD:sgprSrdD+3], 0, offen, offset:0,  sc0 sc1 // store D

s_waitcnt vmcnt(63)                                // wait C (interleaved) 119 = 120 - 115 + 115 - 1
v_lshlrev_b32 v4, 16, v245                         // convert bf16 to fp32
_v_mac_f32 v[vgprValuC+246], v4, s[sgprBeta]       // finalSum = sum*alpha + C*beta
v_cmp_u_f32 s[32:33], v[vgprValuC+246], v[vgprValuC+246] // check Nan
v_bfe_u32 v6, v[vgprValuC+246], 16, 1              // Non-Nan case: store lsb of bf16
v_add3_u32 v6, v[vgprValuC+246], v6, v9            // Non-Nan case: add lsb and the increment for rounding
v_cndmask_b32 v[vgprValuC+246], v6, v8, s[32:33]   // 
v_lshrrev_b32 v[vgprValuC+246], 16, v[vgprValuC+246] // convert C to bf16
_buffer_store_b16 v246, v10, s[sgprSrdD:sgprSrdD+3], 0, offen, offset:64,  sc0 sc1 // store D

s_waitcnt vmcnt(63)                                // wait C (interleaved) 119 = 120 - 116 + 116 - 1
v_lshlrev_b32 v4, 16, v247                         // convert bf16 to fp32
_v_mac_f32 v[vgprValuC+248], v4, s[sgprBeta]       // finalSum = sum*alpha + C*beta
v_cmp_u_f32 s[32:33], v[vgprValuC+248], v[vgprValuC+248] // check Nan
v_bfe_u32 v6, v[vgprValuC+248], 16, 1              // Non-Nan case: store lsb of bf16
v_add3_u32 v6, v[vgprValuC+248], v6, v9            // Non-Nan case: add lsb and the increment for rounding
v_cndmask_b32 v[vgprValuC+248], v6, v8, s[32:33]   // 
v_lshrrev_b32 v[vgprValuC+248], 16, v[vgprValuC+248] // convert C to bf16
	;; [unrolled: 10-line block ×5, first 2 shown]
_buffer_store_b16 v254, v10, s[sgprSrdD:sgprSrdD+3], 0, offen, offset:320,  sc0 sc1 // store D
s_nop 0                                            // 1 wait state required when next inst writes vgprs held by previous dwordx4 store inst
/* optSingleColVgpr=1 optSharedColVgpr=0 optSGPRUsage=BufferLoad_Mask optSrdIncForRow=1 */
s_sleep 5 // optimization: sync and wait
s_barrier

/******************************************/
/* Global Write Alpha Beta Batch #1 (d1,d0,vc1,vc0) = */
/*    (5,0,0,0:vw1); (5,1,0,0:vw1); (5,2,0,0:vw1); (5,3,0,0:vw1); (5,4,0,0:vw1); (5,5,0,0:vw1); (5,0,1,0:vw1); (5,1,1,0:vw1); (5,2,1,0:vw1); (5,3,1,0:vw1); (5,4,1,0:vw1); (5,5,1,0:vw1); (5,0,2,0:vw1); (5,1,2,0:vw1); (5,2,2,0:vw1); (5,3,2,0:vw1); (5,4,2,0:vw1); (5,5,2,0:vw1); (5,0,3,0:vw1); (5,1,3,0:vw1); (5,2,3,0:vw1); (5,3,3,0:vw1); (5,4,3,0:vw1); (5,5,3,0:vw1); (6,0,0,0:vw1); (6,1,0,0:vw1); (6,2,0,0:vw1); (6,3,0,0:vw1); (6,4,0,0:vw1); (6,5,0,0:vw1); (6,0,1,0:vw1); (6,1,1,0:vw1); (6,2,1,0:vw1); (6,3,1,0:vw1); (6,4,1,0:vw1); (6,5,1,0:vw1); (6,0,2,0:vw1); (6,1,2,0:vw1); (6,2,2,0:vw1); (6,3,2,0:vw1); (6,4,2,0:vw1); (6,5,2,0:vw1); (6,0,3,0:vw1); (6,1,3,0:vw1); (6,2,3,0:vw1); (6,3,3,0:vw1); (6,4,3,0:vw1); (6,5,3,0:vw1); (7,0,0,0:vw1); (7,1,0,0:vw1); (7,2,0,0:vw1); (7,3,0,0:vw1); (7,4,0,0:vw1); (7,5,0,0:vw1); (7,0,1,0:vw1); (7,1,1,0:vw1); (7,2,1,0:vw1); (7,3,1,0:vw1); (7,4,1,0:vw1); (7,5,1,0:vw1); (7,0,2,0:vw1); (7,1,2,0:vw1); (7,2,2,0:vw1); (7,3,2,0:vw1); (7,4,2,0:vw1); (7,5,2,0:vw1); (7,0,3,0:vw1); (7,1,3,0:vw1); (7,2,3,0:vw1); (7,3,3,0:vw1); (7,4,3,0:vw1); (7,5,3,0:vw1) */
/******************************************/

/* calc coords, apply mask, and issue loads (if necessary) */
/* (d1,vc1,d0,vc0)=(5,0,0,0) */
s_mul_i32 s32, s[sgprStrideC1J], 58                // scale StrideC *= numRows(29) * bpe
s_add_u32  s[sgprSrdC+0], s[sgprSrdC+0], s32       // incToNextRow: gra SRD += inc(lower)
s_addc_u32  s[sgprSrdC+1], s[sgprSrdC+1], 0        // incToNextRow: gra SRD += inc(upper)
_buffer_load_d16_b16 v12, v11, s[sgprSrdC:sgprSrdC+3], 0, offen offset:0,  sc0 sc1 // load C for beta calc
/* (d1,vc1,d0,vc0)=(5,0,1,0) */
_buffer_load_d16_b16 v14, v11, s[sgprSrdC:sgprSrdC+3], 0, offen offset:64,  sc0 sc1 // load C for beta calc
/* (d1,vc1,d0,vc0)=(5,0,2,0) */
_buffer_load_d16_b16 v16, v11, s[sgprSrdC:sgprSrdC+3], 0, offen offset:128,  sc0 sc1 // load C for beta calc
/* (d1,vc1,d0,vc0)=(5,0,3,0) */
_buffer_load_d16_b16 v18, v11, s[sgprSrdC:sgprSrdC+3], 0, offen offset:192,  sc0 sc1 // load C for beta calc
/* (d1,vc1,d0,vc0)=(5,0,4,0) */
_buffer_load_d16_b16 v20, v11, s[sgprSrdC:sgprSrdC+3], 0, offen offset:256,  sc0 sc1 // load C for beta calc
/* (d1,vc1,d0,vc0)=(5,0,5,0) */
_buffer_load_d16_b16 v22, v11, s[sgprSrdC:sgprSrdC+3], 0, offen offset:320,  sc0 sc1 // load C for beta calc
/* (d1,vc1,d0,vc0)=(5,1,0,0) */
s_lshl_b32  s32, s[sgprStrideC1J], 1               // incToNextRow: Scale by BPE
s_add_u32  s[sgprSrdC+0], s[sgprSrdC+0], s32       // incToNextRow: gra SRD += inc(lower)
s_addc_u32  s[sgprSrdC+1], s[sgprSrdC+1], 0        // incToNextRow: gra SRD += inc(upper)
_buffer_load_d16_b16 v24, v11, s[sgprSrdC:sgprSrdC+3], 0, offen offset:0,  sc0 sc1 // load C for beta calc
/* (d1,vc1,d0,vc0)=(5,1,1,0) */
_buffer_load_d16_b16 v26, v11, s[sgprSrdC:sgprSrdC+3], 0, offen offset:64,  sc0 sc1 // load C for beta calc
/* (d1,vc1,d0,vc0)=(5,1,2,0) */
_buffer_load_d16_b16 v28, v11, s[sgprSrdC:sgprSrdC+3], 0, offen offset:128,  sc0 sc1 // load C for beta calc
/* (d1,vc1,d0,vc0)=(5,1,3,0) */
_buffer_load_d16_b16 v30, v11, s[sgprSrdC:sgprSrdC+3], 0, offen offset:192,  sc0 sc1 // load C for beta calc
/* (d1,vc1,d0,vc0)=(5,1,4,0) */
_buffer_load_d16_b16 v32, v11, s[sgprSrdC:sgprSrdC+3], 0, offen offset:256,  sc0 sc1 // load C for beta calc
/* (d1,vc1,d0,vc0)=(5,1,5,0) */
_buffer_load_d16_b16 v34, v11, s[sgprSrdC:sgprSrdC+3], 0, offen offset:320,  sc0 sc1 // load C for beta calc
/* (d1,vc1,d0,vc0)=(5,2,0,0) */
s_lshl_b32  s32, s[sgprStrideC1J], 1               // incToNextRow: Scale by BPE
s_add_u32  s[sgprSrdC+0], s[sgprSrdC+0], s32       // incToNextRow: gra SRD += inc(lower)
s_addc_u32  s[sgprSrdC+1], s[sgprSrdC+1], 0        // incToNextRow: gra SRD += inc(upper)
_buffer_load_d16_b16 v36, v11, s[sgprSrdC:sgprSrdC+3], 0, offen offset:0,  sc0 sc1 // load C for beta calc
/* (d1,vc1,d0,vc0)=(5,2,1,0) */
_buffer_load_d16_b16 v38, v11, s[sgprSrdC:sgprSrdC+3], 0, offen offset:64,  sc0 sc1 // load C for beta calc
/* (d1,vc1,d0,vc0)=(5,2,2,0) */
_buffer_load_d16_b16 v40, v11, s[sgprSrdC:sgprSrdC+3], 0, offen offset:128,  sc0 sc1 // load C for beta calc
/* (d1,vc1,d0,vc0)=(5,2,3,0) */
_buffer_load_d16_b16 v42, v11, s[sgprSrdC:sgprSrdC+3], 0, offen offset:192,  sc0 sc1 // load C for beta calc
/* (d1,vc1,d0,vc0)=(5,2,4,0) */
_buffer_load_d16_b16 v44, v11, s[sgprSrdC:sgprSrdC+3], 0, offen offset:256,  sc0 sc1 // load C for beta calc
/* (d1,vc1,d0,vc0)=(5,2,5,0) */
_buffer_load_d16_b16 v46, v11, s[sgprSrdC:sgprSrdC+3], 0, offen offset:320,  sc0 sc1 // load C for beta calc
/* (d1,vc1,d0,vc0)=(5,3,0,0) */
s_lshl_b32  s32, s[sgprStrideC1J], 1               // incToNextRow: Scale by BPE
s_add_u32  s[sgprSrdC+0], s[sgprSrdC+0], s32       // incToNextRow: gra SRD += inc(lower)
s_addc_u32  s[sgprSrdC+1], s[sgprSrdC+1], 0        // incToNextRow: gra SRD += inc(upper)
_buffer_load_d16_b16 v48, v11, s[sgprSrdC:sgprSrdC+3], 0, offen offset:0,  sc0 sc1 // load C for beta calc
/* (d1,vc1,d0,vc0)=(5,3,1,0) */
_buffer_load_d16_b16 v50, v11, s[sgprSrdC:sgprSrdC+3], 0, offen offset:64,  sc0 sc1 // load C for beta calc
/* (d1,vc1,d0,vc0)=(5,3,2,0) */
_buffer_load_d16_b16 v52, v11, s[sgprSrdC:sgprSrdC+3], 0, offen offset:128,  sc0 sc1 // load C for beta calc
/* (d1,vc1,d0,vc0)=(5,3,3,0) */
_buffer_load_d16_b16 v54, v11, s[sgprSrdC:sgprSrdC+3], 0, offen offset:192,  sc0 sc1 // load C for beta calc
/* (d1,vc1,d0,vc0)=(5,3,4,0) */
_buffer_load_d16_b16 v56, v11, s[sgprSrdC:sgprSrdC+3], 0, offen offset:256,  sc0 sc1 // load C for beta calc
/* (d1,vc1,d0,vc0)=(5,3,5,0) */
_buffer_load_d16_b16 v58, v11, s[sgprSrdC:sgprSrdC+3], 0, offen offset:320,  sc0 sc1 // load C for beta calc
/* (d1,vc1,d0,vc0)=(6,0,0,0) */
s_mul_i32 s32, s[sgprStrideC1J], 58                // scale StrideC *= numRows(29) * bpe
s_add_u32  s[sgprSrdC+0], s[sgprSrdC+0], s32       // incToNextRow: gra SRD += inc(lower)
s_addc_u32  s[sgprSrdC+1], s[sgprSrdC+1], 0        // incToNextRow: gra SRD += inc(upper)
_buffer_load_d16_b16 v60, v11, s[sgprSrdC:sgprSrdC+3], 0, offen offset:0,  sc0 sc1 // load C for beta calc
/* (d1,vc1,d0,vc0)=(6,0,1,0) */
_buffer_load_d16_b16 v62, v11, s[sgprSrdC:sgprSrdC+3], 0, offen offset:64,  sc0 sc1 // load C for beta calc
/* (d1,vc1,d0,vc0)=(6,0,2,0) */
_buffer_load_d16_b16 v64, v11, s[sgprSrdC:sgprSrdC+3], 0, offen offset:128,  sc0 sc1 // load C for beta calc
/* (d1,vc1,d0,vc0)=(6,0,3,0) */
_buffer_load_d16_b16 v66, v11, s[sgprSrdC:sgprSrdC+3], 0, offen offset:192,  sc0 sc1 // load C for beta calc
/* (d1,vc1,d0,vc0)=(6,0,4,0) */
_buffer_load_d16_b16 v68, v11, s[sgprSrdC:sgprSrdC+3], 0, offen offset:256,  sc0 sc1 // load C for beta calc
/* (d1,vc1,d0,vc0)=(6,0,5,0) */
_buffer_load_d16_b16 v70, v11, s[sgprSrdC:sgprSrdC+3], 0, offen offset:320,  sc0 sc1 // load C for beta calc
/* (d1,vc1,d0,vc0)=(6,1,0,0) */
s_lshl_b32  s32, s[sgprStrideC1J], 1               // incToNextRow: Scale by BPE
s_add_u32  s[sgprSrdC+0], s[sgprSrdC+0], s32       // incToNextRow: gra SRD += inc(lower)
s_addc_u32  s[sgprSrdC+1], s[sgprSrdC+1], 0        // incToNextRow: gra SRD += inc(upper)
_buffer_load_d16_b16 v72, v11, s[sgprSrdC:sgprSrdC+3], 0, offen offset:0,  sc0 sc1 // load C for beta calc
/* (d1,vc1,d0,vc0)=(6,1,1,0) */
_buffer_load_d16_b16 v74, v11, s[sgprSrdC:sgprSrdC+3], 0, offen offset:64,  sc0 sc1 // load C for beta calc
/* (d1,vc1,d0,vc0)=(6,1,2,0) */
_buffer_load_d16_b16 v76, v11, s[sgprSrdC:sgprSrdC+3], 0, offen offset:128,  sc0 sc1 // load C for beta calc
/* (d1,vc1,d0,vc0)=(6,1,3,0) */
_buffer_load_d16_b16 v78, v11, s[sgprSrdC:sgprSrdC+3], 0, offen offset:192,  sc0 sc1 // load C for beta calc
/* (d1,vc1,d0,vc0)=(6,1,4,0) */
_buffer_load_d16_b16 v80, v11, s[sgprSrdC:sgprSrdC+3], 0, offen offset:256,  sc0 sc1 // load C for beta calc
/* (d1,vc1,d0,vc0)=(6,1,5,0) */
_buffer_load_d16_b16 v82, v11, s[sgprSrdC:sgprSrdC+3], 0, offen offset:320,  sc0 sc1 // load C for beta calc
/* (d1,vc1,d0,vc0)=(6,2,0,0) */
s_lshl_b32  s32, s[sgprStrideC1J], 1               // incToNextRow: Scale by BPE
s_add_u32  s[sgprSrdC+0], s[sgprSrdC+0], s32       // incToNextRow: gra SRD += inc(lower)
s_addc_u32  s[sgprSrdC+1], s[sgprSrdC+1], 0        // incToNextRow: gra SRD += inc(upper)
_buffer_load_d16_b16 v84, v11, s[sgprSrdC:sgprSrdC+3], 0, offen offset:0,  sc0 sc1 // load C for beta calc
/* (d1,vc1,d0,vc0)=(6,2,1,0) */
_buffer_load_d16_b16 v86, v11, s[sgprSrdC:sgprSrdC+3], 0, offen offset:64,  sc0 sc1 // load C for beta calc
/* (d1,vc1,d0,vc0)=(6,2,2,0) */
_buffer_load_d16_b16 v88, v11, s[sgprSrdC:sgprSrdC+3], 0, offen offset:128,  sc0 sc1 // load C for beta calc
/* (d1,vc1,d0,vc0)=(6,2,3,0) */
_buffer_load_d16_b16 v90, v11, s[sgprSrdC:sgprSrdC+3], 0, offen offset:192,  sc0 sc1 // load C for beta calc
/* (d1,vc1,d0,vc0)=(6,2,4,0) */
_buffer_load_d16_b16 v92, v11, s[sgprSrdC:sgprSrdC+3], 0, offen offset:256,  sc0 sc1 // load C for beta calc
/* (d1,vc1,d0,vc0)=(6,2,5,0) */
_buffer_load_d16_b16 v94, v11, s[sgprSrdC:sgprSrdC+3], 0, offen offset:320,  sc0 sc1 // load C for beta calc
/* (d1,vc1,d0,vc0)=(6,3,0,0) */
s_lshl_b32  s32, s[sgprStrideC1J], 1               // incToNextRow: Scale by BPE
s_add_u32  s[sgprSrdC+0], s[sgprSrdC+0], s32       // incToNextRow: gra SRD += inc(lower)
s_addc_u32  s[sgprSrdC+1], s[sgprSrdC+1], 0        // incToNextRow: gra SRD += inc(upper)
_buffer_load_d16_b16 v96, v11, s[sgprSrdC:sgprSrdC+3], 0, offen offset:0,  sc0 sc1 // load C for beta calc
/* (d1,vc1,d0,vc0)=(6,3,1,0) */
_buffer_load_d16_b16 v98, v11, s[sgprSrdC:sgprSrdC+3], 0, offen offset:64,  sc0 sc1 // load C for beta calc
/* (d1,vc1,d0,vc0)=(6,3,2,0) */
_buffer_load_d16_b16 v100, v11, s[sgprSrdC:sgprSrdC+3], 0, offen offset:128,  sc0 sc1 // load C for beta calc
/* (d1,vc1,d0,vc0)=(6,3,3,0) */
_buffer_load_d16_b16 v102, v11, s[sgprSrdC:sgprSrdC+3], 0, offen offset:192,  sc0 sc1 // load C for beta calc
/* (d1,vc1,d0,vc0)=(6,3,4,0) */
_buffer_load_d16_b16 v104, v11, s[sgprSrdC:sgprSrdC+3], 0, offen offset:256,  sc0 sc1 // load C for beta calc
/* (d1,vc1,d0,vc0)=(6,3,5,0) */
_buffer_load_d16_b16 v106, v11, s[sgprSrdC:sgprSrdC+3], 0, offen offset:320,  sc0 sc1 // load C for beta calc
	;; [unrolled: 60-line block ×3, first 2 shown]
s_sleep 5 // optimization: sync and wait
s_barrier
v_accvgpr_read_b32 v[vgprValuC+13], acc120 // copy acc to vreg[120]
v_accvgpr_read_b32 v[vgprValuC+15], acc124 // copy acc to vreg[121]
v_accvgpr_read_b32 v[vgprValuC+17], acc128 // copy acc to vreg[122]
v_accvgpr_read_b32 v[vgprValuC+19], acc132 // copy acc to vreg[123]
v_accvgpr_read_b32 v[vgprValuC+21], acc136 // copy acc to vreg[124]
v_accvgpr_read_b32 v[vgprValuC+23], acc140 // copy acc to vreg[125]
v_accvgpr_read_b32 v[vgprValuC+25], acc121 // copy acc to vreg[126]
v_accvgpr_read_b32 v[vgprValuC+27], acc125 // copy acc to vreg[127]
v_accvgpr_read_b32 v[vgprValuC+29], acc129 // copy acc to vreg[128]
v_accvgpr_read_b32 v[vgprValuC+31], acc133 // copy acc to vreg[129]
v_accvgpr_read_b32 v[vgprValuC+33], acc137 // copy acc to vreg[130]
v_accvgpr_read_b32 v[vgprValuC+35], acc141 // copy acc to vreg[131]
v_accvgpr_read_b32 v[vgprValuC+37], acc122 // copy acc to vreg[132]
v_accvgpr_read_b32 v[vgprValuC+39], acc126 // copy acc to vreg[133]
v_accvgpr_read_b32 v[vgprValuC+41], acc130 // copy acc to vreg[134]
v_accvgpr_read_b32 v[vgprValuC+43], acc134 // copy acc to vreg[135]
v_accvgpr_read_b32 v[vgprValuC+45], acc138 // copy acc to vreg[136]
v_accvgpr_read_b32 v[vgprValuC+47], acc142 // copy acc to vreg[137]
v_accvgpr_read_b32 v[vgprValuC+49], acc123 // copy acc to vreg[138]
v_accvgpr_read_b32 v[vgprValuC+51], acc127 // copy acc to vreg[139]
v_accvgpr_read_b32 v[vgprValuC+53], acc131 // copy acc to vreg[140]
v_accvgpr_read_b32 v[vgprValuC+55], acc135 // copy acc to vreg[141]
v_accvgpr_read_b32 v[vgprValuC+57], acc139 // copy acc to vreg[142]
v_accvgpr_read_b32 v[vgprValuC+59], acc143 // copy acc to vreg[143]
v_accvgpr_read_b32 v[vgprValuC+61], acc144 // copy acc to vreg[144]
v_accvgpr_read_b32 v[vgprValuC+63], acc148 // copy acc to vreg[145]
v_accvgpr_read_b32 v[vgprValuC+65], acc152 // copy acc to vreg[146]
v_accvgpr_read_b32 v[vgprValuC+67], acc156 // copy acc to vreg[147]
v_accvgpr_read_b32 v[vgprValuC+69], acc160 // copy acc to vreg[148]
v_accvgpr_read_b32 v[vgprValuC+71], acc164 // copy acc to vreg[149]
v_accvgpr_read_b32 v[vgprValuC+73], acc145 // copy acc to vreg[150]
v_accvgpr_read_b32 v[vgprValuC+75], acc149 // copy acc to vreg[151]
v_accvgpr_read_b32 v[vgprValuC+77], acc153 // copy acc to vreg[152]
v_accvgpr_read_b32 v[vgprValuC+79], acc157 // copy acc to vreg[153]
v_accvgpr_read_b32 v[vgprValuC+81], acc161 // copy acc to vreg[154]
v_accvgpr_read_b32 v[vgprValuC+83], acc165 // copy acc to vreg[155]
v_accvgpr_read_b32 v[vgprValuC+85], acc146 // copy acc to vreg[156]
v_accvgpr_read_b32 v[vgprValuC+87], acc150 // copy acc to vreg[157]
v_accvgpr_read_b32 v[vgprValuC+89], acc154 // copy acc to vreg[158]
v_accvgpr_read_b32 v[vgprValuC+91], acc158 // copy acc to vreg[159]
v_accvgpr_read_b32 v[vgprValuC+93], acc162 // copy acc to vreg[160]
v_accvgpr_read_b32 v[vgprValuC+95], acc166 // copy acc to vreg[161]
v_accvgpr_read_b32 v[vgprValuC+97], acc147 // copy acc to vreg[162]
v_accvgpr_read_b32 v[vgprValuC+99], acc151 // copy acc to vreg[163]
v_accvgpr_read_b32 v[vgprValuC+101], acc155 // copy acc to vreg[164]
v_accvgpr_read_b32 v[vgprValuC+103], acc159 // copy acc to vreg[165]
v_accvgpr_read_b32 v[vgprValuC+105], acc163 // copy acc to vreg[166]
v_accvgpr_read_b32 v[vgprValuC+107], acc167 // copy acc to vreg[167]
v_accvgpr_read_b32 v[vgprValuC+109], acc168 // copy acc to vreg[168]
v_accvgpr_read_b32 v[vgprValuC+111], acc172 // copy acc to vreg[169]
v_accvgpr_read_b32 v[vgprValuC+113], acc176 // copy acc to vreg[170]
v_accvgpr_read_b32 v[vgprValuC+115], acc180 // copy acc to vreg[171]
v_accvgpr_read_b32 v[vgprValuC+117], acc184 // copy acc to vreg[172]
v_accvgpr_read_b32 v[vgprValuC+119], acc188 // copy acc to vreg[173]
v_accvgpr_read_b32 v[vgprValuC+121], acc169 // copy acc to vreg[174]
v_accvgpr_read_b32 v[vgprValuC+123], acc173 // copy acc to vreg[175]
v_accvgpr_read_b32 v[vgprValuC+125], acc177 // copy acc to vreg[176]
v_accvgpr_read_b32 v[vgprValuC+127], acc181 // copy acc to vreg[177]
v_accvgpr_read_b32 v[vgprValuC+129], acc185 // copy acc to vreg[178]
v_accvgpr_read_b32 v[vgprValuC+131], acc189 // copy acc to vreg[179]
v_accvgpr_read_b32 v[vgprValuC+133], acc170 // copy acc to vreg[180]
v_accvgpr_read_b32 v[vgprValuC+135], acc174 // copy acc to vreg[181]
v_accvgpr_read_b32 v[vgprValuC+137], acc178 // copy acc to vreg[182]
v_accvgpr_read_b32 v[vgprValuC+139], acc182 // copy acc to vreg[183]
v_accvgpr_read_b32 v[vgprValuC+141], acc186 // copy acc to vreg[184]
v_accvgpr_read_b32 v[vgprValuC+143], acc190 // copy acc to vreg[185]
v_accvgpr_read_b32 v[vgprValuC+145], acc171 // copy acc to vreg[186]
v_accvgpr_read_b32 v[vgprValuC+147], acc175 // copy acc to vreg[187]
v_accvgpr_read_b32 v[vgprValuC+149], acc179 // copy acc to vreg[188]
v_accvgpr_read_b32 v[vgprValuC+151], acc183 // copy acc to vreg[189]
v_accvgpr_read_b32 v[vgprValuC+153], acc187 // copy acc to vreg[190]
v_accvgpr_read_b32 v[vgprValuC+155], acc191 // copy acc to vreg[191]
s_nop 1                                            // 2 wait states required before reading vgpr

/* rC *= alpha batchElements=[(5, 0, 0, 0), (5, 1, 0, 0), (5, 2, 0, 0), (5, 3, 0, 0), (5, 4, 0, 0), (5, 5, 0, 0), (5, 0, 1, 0), (5, 1, 1, 0), (5, 2, 1, 0), (5, 3, 1, 0), (5, 4, 1, 0), (5, 5, 1, 0), (5, 0, 2, 0), (5, 1, 2, 0), (5, 2, 2, 0), (5, 3, 2, 0), (5, 4, 2, 0), (5, 5, 2, 0), (5, 0, 3, 0), (5, 1, 3, 0), (5, 2, 3, 0), (5, 3, 3, 0), (5, 4, 3, 0), (5, 5, 3, 0), (6, 0, 0, 0), (6, 1, 0, 0), (6, 2, 0, 0), (6, 3, 0, 0), (6, 4, 0, 0), (6, 5, 0, 0), (6, 0, 1, 0), (6, 1, 1, 0), (6, 2, 1, 0), (6, 3, 1, 0), (6, 4, 1, 0), (6, 5, 1, 0), (6, 0, 2, 0), (6, 1, 2, 0), (6, 2, 2, 0), (6, 3, 2, 0), (6, 4, 2, 0), (6, 5, 2, 0), (6, 0, 3, 0), (6, 1, 3, 0), (6, 2, 3, 0), (6, 3, 3, 0), (6, 4, 3, 0), (6, 5, 3, 0), (7, 0, 0, 0), (7, 1, 0, 0), (7, 2, 0, 0), (7, 3, 0, 0), (7, 4, 0, 0), (7, 5, 0, 0), (7, 0, 1, 0), (7, 1, 1, 0), (7, 2, 1, 0), (7, 3, 1, 0), (7, 4, 1, 0), (7, 5, 1, 0), (7, 0, 2, 0), (7, 1, 2, 0), (7, 2, 2, 0), (7, 3, 2, 0), (7, 4, 2, 0), (7, 5, 2, 0), (7, 0, 3, 0), (7, 1, 3, 0), (7, 2, 3, 0), (7, 3, 3, 0), (7, 4, 3, 0), (7, 5, 3, 0)] */
v_mul_f32 v[vgprValuC+13], s[sgprAlpha], v[vgprValuC+13] // *= alpha
v_mul_f32 v[vgprValuC+15], s[sgprAlpha], v[vgprValuC+15] // *= alpha
	;; [unrolled: 1-line block ×72, first 2 shown]

/* apply mask, calc new C and issue writes */
v_mov_b32 v7, 0xffff0000                           // mask for pack two bfloat16 element to 32bit
v_mov_b32 v8, 0x7fff0000                           // fp32 Nan
v_mov_b32 v9, 0x7fff                               // rounding bias for bfloat16

s_waitcnt vmcnt(63)                                // wait C (interleaved) 71 = 72 - 0 + 0 - 1
v_lshlrev_b32 v4, 16, v12                          // convert bf16 to fp32
_v_mac_f32 v[vgprValuC+13], v4, s[sgprBeta]        // finalSum = sum*alpha + C*beta
v_cmp_u_f32 s[32:33], v[vgprValuC+13], v[vgprValuC+13] // check Nan
v_bfe_u32 v6, v[vgprValuC+13], 16, 1               // Non-Nan case: store lsb of bf16
v_add3_u32 v6, v[vgprValuC+13], v6, v9             // Non-Nan case: add lsb and the increment for rounding
v_cndmask_b32 v[vgprValuC+13], v6, v8, s[32:33]    // 
v_lshrrev_b32 v[vgprValuC+13], 16, v[vgprValuC+13] // convert C to bf16
s_mul_i32 s32, s[sgprStrideD1J], 58                // scale StrideD *= numRows(29) * bpe
s_add_u32  s[sgprSrdD+0], s[sgprSrdD+0], s32       // incToNextRow: gra SRD += inc(lower)
s_addc_u32  s[sgprSrdD+1], s[sgprSrdD+1], 0        // incToNextRow: gra SRD += inc(upper)
_buffer_store_b16 v13, v10, s[sgprSrdD:sgprSrdD+3], 0, offen, offset:0,  sc0 sc1 // store D

s_waitcnt vmcnt(63)                                // wait C (interleaved) 71 = 72 - 1 + 1 - 1
v_lshlrev_b32 v4, 16, v14                          // convert bf16 to fp32
_v_mac_f32 v[vgprValuC+15], v4, s[sgprBeta]        // finalSum = sum*alpha + C*beta
v_cmp_u_f32 s[32:33], v[vgprValuC+15], v[vgprValuC+15] // check Nan
v_bfe_u32 v6, v[vgprValuC+15], 16, 1               // Non-Nan case: store lsb of bf16
v_add3_u32 v6, v[vgprValuC+15], v6, v9             // Non-Nan case: add lsb and the increment for rounding
v_cndmask_b32 v[vgprValuC+15], v6, v8, s[32:33]    // 
v_lshrrev_b32 v[vgprValuC+15], 16, v[vgprValuC+15] // convert C to bf16
_buffer_store_b16 v15, v10, s[sgprSrdD:sgprSrdD+3], 0, offen, offset:64,  sc0 sc1 // store D

s_waitcnt vmcnt(63)                                // wait C (interleaved) 71 = 72 - 2 + 2 - 1
v_lshlrev_b32 v4, 16, v16                          // convert bf16 to fp32
_v_mac_f32 v[vgprValuC+17], v4, s[sgprBeta]        // finalSum = sum*alpha + C*beta
v_cmp_u_f32 s[32:33], v[vgprValuC+17], v[vgprValuC+17] // check Nan
v_bfe_u32 v6, v[vgprValuC+17], 16, 1               // Non-Nan case: store lsb of bf16
v_add3_u32 v6, v[vgprValuC+17], v6, v9             // Non-Nan case: add lsb and the increment for rounding
v_cndmask_b32 v[vgprValuC+17], v6, v8, s[32:33]    // 
v_lshrrev_b32 v[vgprValuC+17], 16, v[vgprValuC+17] // convert C to bf16
_buffer_store_b16 v17, v10, s[sgprSrdD:sgprSrdD+3], 0, offen, offset:128,  sc0 sc1 // store D

s_waitcnt vmcnt(63)                                // wait C (interleaved) 71 = 72 - 3 + 3 - 1
v_lshlrev_b32 v4, 16, v18                          // convert bf16 to fp32
_v_mac_f32 v[vgprValuC+19], v4, s[sgprBeta]        // finalSum = sum*alpha + C*beta
v_cmp_u_f32 s[32:33], v[vgprValuC+19], v[vgprValuC+19] // check Nan
v_bfe_u32 v6, v[vgprValuC+19], 16, 1               // Non-Nan case: store lsb of bf16
v_add3_u32 v6, v[vgprValuC+19], v6, v9             // Non-Nan case: add lsb and the increment for rounding
v_cndmask_b32 v[vgprValuC+19], v6, v8, s[32:33]    // 
v_lshrrev_b32 v[vgprValuC+19], 16, v[vgprValuC+19] // convert C to bf16
_buffer_store_b16 v19, v10, s[sgprSrdD:sgprSrdD+3], 0, offen, offset:192,  sc0 sc1 // store D

s_waitcnt vmcnt(63)                                // wait C (interleaved) 71 = 72 - 4 + 4 - 1
v_lshlrev_b32 v4, 16, v20                          // convert bf16 to fp32
_v_mac_f32 v[vgprValuC+21], v4, s[sgprBeta]        // finalSum = sum*alpha + C*beta
v_cmp_u_f32 s[32:33], v[vgprValuC+21], v[vgprValuC+21] // check Nan
v_bfe_u32 v6, v[vgprValuC+21], 16, 1               // Non-Nan case: store lsb of bf16
v_add3_u32 v6, v[vgprValuC+21], v6, v9             // Non-Nan case: add lsb and the increment for rounding
v_cndmask_b32 v[vgprValuC+21], v6, v8, s[32:33]    // 
v_lshrrev_b32 v[vgprValuC+21], 16, v[vgprValuC+21] // convert C to bf16
_buffer_store_b16 v21, v10, s[sgprSrdD:sgprSrdD+3], 0, offen, offset:256,  sc0 sc1 // store D

s_waitcnt vmcnt(63)                                // wait C (interleaved) 71 = 72 - 5 + 5 - 1
v_lshlrev_b32 v4, 16, v22                          // convert bf16 to fp32
_v_mac_f32 v[vgprValuC+23], v4, s[sgprBeta]        // finalSum = sum*alpha + C*beta
v_cmp_u_f32 s[32:33], v[vgprValuC+23], v[vgprValuC+23] // check Nan
v_bfe_u32 v6, v[vgprValuC+23], 16, 1               // Non-Nan case: store lsb of bf16
v_add3_u32 v6, v[vgprValuC+23], v6, v9             // Non-Nan case: add lsb and the increment for rounding
v_cndmask_b32 v[vgprValuC+23], v6, v8, s[32:33]    // 
v_lshrrev_b32 v[vgprValuC+23], 16, v[vgprValuC+23] // convert C to bf16
_buffer_store_b16 v23, v10, s[sgprSrdD:sgprSrdD+3], 0, offen, offset:320,  sc0 sc1 // store D

s_waitcnt vmcnt(63)                                // wait C (interleaved) 71 = 72 - 6 + 6 - 1
v_lshlrev_b32 v4, 16, v24                          // convert bf16 to fp32
_v_mac_f32 v[vgprValuC+25], v4, s[sgprBeta]        // finalSum = sum*alpha + C*beta
v_cmp_u_f32 s[32:33], v[vgprValuC+25], v[vgprValuC+25] // check Nan
v_bfe_u32 v6, v[vgprValuC+25], 16, 1               // Non-Nan case: store lsb of bf16
v_add3_u32 v6, v[vgprValuC+25], v6, v9             // Non-Nan case: add lsb and the increment for rounding
v_cndmask_b32 v[vgprValuC+25], v6, v8, s[32:33]    // 
v_lshrrev_b32 v[vgprValuC+25], 16, v[vgprValuC+25] // convert C to bf16
s_lshl_b32  s32, s[sgprStrideD1J], 1               // incToNextRow: Scale by BPE
s_add_u32  s[sgprSrdD+0], s[sgprSrdD+0], s32       // incToNextRow: gra SRD += inc(lower)
s_addc_u32  s[sgprSrdD+1], s[sgprSrdD+1], 0        // incToNextRow: gra SRD += inc(upper)
_buffer_store_b16 v25, v10, s[sgprSrdD:sgprSrdD+3], 0, offen, offset:0,  sc0 sc1 // store D

s_waitcnt vmcnt(63)                                // wait C (interleaved) 71 = 72 - 7 + 7 - 1
v_lshlrev_b32 v4, 16, v26                          // convert bf16 to fp32
_v_mac_f32 v[vgprValuC+27], v4, s[sgprBeta]        // finalSum = sum*alpha + C*beta
v_cmp_u_f32 s[32:33], v[vgprValuC+27], v[vgprValuC+27] // check Nan
v_bfe_u32 v6, v[vgprValuC+27], 16, 1               // Non-Nan case: store lsb of bf16
v_add3_u32 v6, v[vgprValuC+27], v6, v9             // Non-Nan case: add lsb and the increment for rounding
v_cndmask_b32 v[vgprValuC+27], v6, v8, s[32:33]    // 
v_lshrrev_b32 v[vgprValuC+27], 16, v[vgprValuC+27] // convert C to bf16
_buffer_store_b16 v27, v10, s[sgprSrdD:sgprSrdD+3], 0, offen, offset:64,  sc0 sc1 // store D

s_waitcnt vmcnt(63)                                // wait C (interleaved) 71 = 72 - 8 + 8 - 1
v_lshlrev_b32 v4, 16, v28                          // convert bf16 to fp32
_v_mac_f32 v[vgprValuC+29], v4, s[sgprBeta]        // finalSum = sum*alpha + C*beta
v_cmp_u_f32 s[32:33], v[vgprValuC+29], v[vgprValuC+29] // check Nan
v_bfe_u32 v6, v[vgprValuC+29], 16, 1               // Non-Nan case: store lsb of bf16
v_add3_u32 v6, v[vgprValuC+29], v6, v9             // Non-Nan case: add lsb and the increment for rounding
v_cndmask_b32 v[vgprValuC+29], v6, v8, s[32:33]    // 
v_lshrrev_b32 v[vgprValuC+29], 16, v[vgprValuC+29] // convert C to bf16
_buffer_store_b16 v29, v10, s[sgprSrdD:sgprSrdD+3], 0, offen, offset:128,  sc0 sc1 // store D

s_waitcnt vmcnt(63)                                // wait C (interleaved) 71 = 72 - 9 + 9 - 1
v_lshlrev_b32 v4, 16, v30                          // convert bf16 to fp32
_v_mac_f32 v[vgprValuC+31], v4, s[sgprBeta]        // finalSum = sum*alpha + C*beta
v_cmp_u_f32 s[32:33], v[vgprValuC+31], v[vgprValuC+31] // check Nan
v_bfe_u32 v6, v[vgprValuC+31], 16, 1               // Non-Nan case: store lsb of bf16
v_add3_u32 v6, v[vgprValuC+31], v6, v9             // Non-Nan case: add lsb and the increment for rounding
v_cndmask_b32 v[vgprValuC+31], v6, v8, s[32:33]    // 
v_lshrrev_b32 v[vgprValuC+31], 16, v[vgprValuC+31] // convert C to bf16
_buffer_store_b16 v31, v10, s[sgprSrdD:sgprSrdD+3], 0, offen, offset:192,  sc0 sc1 // store D

s_waitcnt vmcnt(63)                                // wait C (interleaved) 71 = 72 - 10 + 10 - 1
v_lshlrev_b32 v4, 16, v32                          // convert bf16 to fp32
_v_mac_f32 v[vgprValuC+33], v4, s[sgprBeta]        // finalSum = sum*alpha + C*beta
v_cmp_u_f32 s[32:33], v[vgprValuC+33], v[vgprValuC+33] // check Nan
v_bfe_u32 v6, v[vgprValuC+33], 16, 1               // Non-Nan case: store lsb of bf16
v_add3_u32 v6, v[vgprValuC+33], v6, v9             // Non-Nan case: add lsb and the increment for rounding
v_cndmask_b32 v[vgprValuC+33], v6, v8, s[32:33]    // 
v_lshrrev_b32 v[vgprValuC+33], 16, v[vgprValuC+33] // convert C to bf16
_buffer_store_b16 v33, v10, s[sgprSrdD:sgprSrdD+3], 0, offen, offset:256,  sc0 sc1 // store D

s_waitcnt vmcnt(63)                                // wait C (interleaved) 71 = 72 - 11 + 11 - 1
v_lshlrev_b32 v4, 16, v34                          // convert bf16 to fp32
_v_mac_f32 v[vgprValuC+35], v4, s[sgprBeta]        // finalSum = sum*alpha + C*beta
v_cmp_u_f32 s[32:33], v[vgprValuC+35], v[vgprValuC+35] // check Nan
v_bfe_u32 v6, v[vgprValuC+35], 16, 1               // Non-Nan case: store lsb of bf16
v_add3_u32 v6, v[vgprValuC+35], v6, v9             // Non-Nan case: add lsb and the increment for rounding
v_cndmask_b32 v[vgprValuC+35], v6, v8, s[32:33]    // 
v_lshrrev_b32 v[vgprValuC+35], 16, v[vgprValuC+35] // convert C to bf16
_buffer_store_b16 v35, v10, s[sgprSrdD:sgprSrdD+3], 0, offen, offset:320,  sc0 sc1 // store D

s_waitcnt vmcnt(63)                                // wait C (interleaved) 71 = 72 - 12 + 12 - 1
v_lshlrev_b32 v4, 16, v36                          // convert bf16 to fp32
_v_mac_f32 v[vgprValuC+37], v4, s[sgprBeta]        // finalSum = sum*alpha + C*beta
v_cmp_u_f32 s[32:33], v[vgprValuC+37], v[vgprValuC+37] // check Nan
v_bfe_u32 v6, v[vgprValuC+37], 16, 1               // Non-Nan case: store lsb of bf16
v_add3_u32 v6, v[vgprValuC+37], v6, v9             // Non-Nan case: add lsb and the increment for rounding
v_cndmask_b32 v[vgprValuC+37], v6, v8, s[32:33]    // 
v_lshrrev_b32 v[vgprValuC+37], 16, v[vgprValuC+37] // convert C to bf16
s_lshl_b32  s32, s[sgprStrideD1J], 1               // incToNextRow: Scale by BPE
	;; [unrolled: 63-line block ×3, first 2 shown]
s_add_u32  s[sgprSrdD+0], s[sgprSrdD+0], s32       // incToNextRow: gra SRD += inc(lower)
s_addc_u32  s[sgprSrdD+1], s[sgprSrdD+1], 0        // incToNextRow: gra SRD += inc(upper)
_buffer_store_b16 v49, v10, s[sgprSrdD:sgprSrdD+3], 0, offen, offset:0,  sc0 sc1 // store D

s_waitcnt vmcnt(63)                                // wait C (interleaved) 71 = 72 - 19 + 19 - 1
v_lshlrev_b32 v4, 16, v50                          // convert bf16 to fp32
_v_mac_f32 v[vgprValuC+51], v4, s[sgprBeta]        // finalSum = sum*alpha + C*beta
v_cmp_u_f32 s[32:33], v[vgprValuC+51], v[vgprValuC+51] // check Nan
v_bfe_u32 v6, v[vgprValuC+51], 16, 1               // Non-Nan case: store lsb of bf16
v_add3_u32 v6, v[vgprValuC+51], v6, v9             // Non-Nan case: add lsb and the increment for rounding
v_cndmask_b32 v[vgprValuC+51], v6, v8, s[32:33]    // 
v_lshrrev_b32 v[vgprValuC+51], 16, v[vgprValuC+51] // convert C to bf16
_buffer_store_b16 v51, v10, s[sgprSrdD:sgprSrdD+3], 0, offen, offset:64,  sc0 sc1 // store D

s_waitcnt vmcnt(63)                                // wait C (interleaved) 71 = 72 - 20 + 20 - 1
v_lshlrev_b32 v4, 16, v52                          // convert bf16 to fp32
_v_mac_f32 v[vgprValuC+53], v4, s[sgprBeta]        // finalSum = sum*alpha + C*beta
v_cmp_u_f32 s[32:33], v[vgprValuC+53], v[vgprValuC+53] // check Nan
v_bfe_u32 v6, v[vgprValuC+53], 16, 1               // Non-Nan case: store lsb of bf16
v_add3_u32 v6, v[vgprValuC+53], v6, v9             // Non-Nan case: add lsb and the increment for rounding
v_cndmask_b32 v[vgprValuC+53], v6, v8, s[32:33]    // 
v_lshrrev_b32 v[vgprValuC+53], 16, v[vgprValuC+53] // convert C to bf16
	;; [unrolled: 10-line block ×6, first 2 shown]
s_mul_i32 s32, s[sgprStrideD1J], 58                // scale StrideD *= numRows(29) * bpe
s_add_u32  s[sgprSrdD+0], s[sgprSrdD+0], s32       // incToNextRow: gra SRD += inc(lower)
s_addc_u32  s[sgprSrdD+1], s[sgprSrdD+1], 0        // incToNextRow: gra SRD += inc(upper)
_buffer_store_b16 v61, v10, s[sgprSrdD:sgprSrdD+3], 0, offen, offset:0,  sc0 sc1 // store D

s_waitcnt vmcnt(63)                                // wait C (interleaved) 71 = 72 - 25 + 25 - 1
v_lshlrev_b32 v4, 16, v62                          // convert bf16 to fp32
_v_mac_f32 v[vgprValuC+63], v4, s[sgprBeta]        // finalSum = sum*alpha + C*beta
v_cmp_u_f32 s[32:33], v[vgprValuC+63], v[vgprValuC+63] // check Nan
v_bfe_u32 v6, v[vgprValuC+63], 16, 1               // Non-Nan case: store lsb of bf16
v_add3_u32 v6, v[vgprValuC+63], v6, v9             // Non-Nan case: add lsb and the increment for rounding
v_cndmask_b32 v[vgprValuC+63], v6, v8, s[32:33]    // 
v_lshrrev_b32 v[vgprValuC+63], 16, v[vgprValuC+63] // convert C to bf16
_buffer_store_b16 v63, v10, s[sgprSrdD:sgprSrdD+3], 0, offen, offset:64,  sc0 sc1 // store D

s_waitcnt vmcnt(63)                                // wait C (interleaved) 71 = 72 - 26 + 26 - 1
v_lshlrev_b32 v4, 16, v64                          // convert bf16 to fp32
_v_mac_f32 v[vgprValuC+65], v4, s[sgprBeta]        // finalSum = sum*alpha + C*beta
v_cmp_u_f32 s[32:33], v[vgprValuC+65], v[vgprValuC+65] // check Nan
v_bfe_u32 v6, v[vgprValuC+65], 16, 1               // Non-Nan case: store lsb of bf16
v_add3_u32 v6, v[vgprValuC+65], v6, v9             // Non-Nan case: add lsb and the increment for rounding
v_cndmask_b32 v[vgprValuC+65], v6, v8, s[32:33]    // 
v_lshrrev_b32 v[vgprValuC+65], 16, v[vgprValuC+65] // convert C to bf16
_buffer_store_b16 v65, v10, s[sgprSrdD:sgprSrdD+3], 0, offen, offset:128,  sc0 sc1 // store D

s_waitcnt vmcnt(63)                                // wait C (interleaved) 71 = 72 - 27 + 27 - 1
v_lshlrev_b32 v4, 16, v66                          // convert bf16 to fp32
_v_mac_f32 v[vgprValuC+67], v4, s[sgprBeta]        // finalSum = sum*alpha + C*beta
v_cmp_u_f32 s[32:33], v[vgprValuC+67], v[vgprValuC+67] // check Nan
v_bfe_u32 v6, v[vgprValuC+67], 16, 1               // Non-Nan case: store lsb of bf16
v_add3_u32 v6, v[vgprValuC+67], v6, v9             // Non-Nan case: add lsb and the increment for rounding
v_cndmask_b32 v[vgprValuC+67], v6, v8, s[32:33]    // 
v_lshrrev_b32 v[vgprValuC+67], 16, v[vgprValuC+67] // convert C to bf16
_buffer_store_b16 v67, v10, s[sgprSrdD:sgprSrdD+3], 0, offen, offset:192,  sc0 sc1 // store D

s_waitcnt vmcnt(63)                                // wait C (interleaved) 71 = 72 - 28 + 28 - 1
v_lshlrev_b32 v4, 16, v68                          // convert bf16 to fp32
_v_mac_f32 v[vgprValuC+69], v4, s[sgprBeta]        // finalSum = sum*alpha + C*beta
v_cmp_u_f32 s[32:33], v[vgprValuC+69], v[vgprValuC+69] // check Nan
v_bfe_u32 v6, v[vgprValuC+69], 16, 1               // Non-Nan case: store lsb of bf16
v_add3_u32 v6, v[vgprValuC+69], v6, v9             // Non-Nan case: add lsb and the increment for rounding
v_cndmask_b32 v[vgprValuC+69], v6, v8, s[32:33]    // 
v_lshrrev_b32 v[vgprValuC+69], 16, v[vgprValuC+69] // convert C to bf16
_buffer_store_b16 v69, v10, s[sgprSrdD:sgprSrdD+3], 0, offen, offset:256,  sc0 sc1 // store D

s_waitcnt vmcnt(63)                                // wait C (interleaved) 71 = 72 - 29 + 29 - 1
v_lshlrev_b32 v4, 16, v70                          // convert bf16 to fp32
_v_mac_f32 v[vgprValuC+71], v4, s[sgprBeta]        // finalSum = sum*alpha + C*beta
v_cmp_u_f32 s[32:33], v[vgprValuC+71], v[vgprValuC+71] // check Nan
v_bfe_u32 v6, v[vgprValuC+71], 16, 1               // Non-Nan case: store lsb of bf16
v_add3_u32 v6, v[vgprValuC+71], v6, v9             // Non-Nan case: add lsb and the increment for rounding
v_cndmask_b32 v[vgprValuC+71], v6, v8, s[32:33]    // 
v_lshrrev_b32 v[vgprValuC+71], 16, v[vgprValuC+71] // convert C to bf16
_buffer_store_b16 v71, v10, s[sgprSrdD:sgprSrdD+3], 0, offen, offset:320,  sc0 sc1 // store D

s_waitcnt vmcnt(63)                                // wait C (interleaved) 71 = 72 - 30 + 30 - 1
v_lshlrev_b32 v4, 16, v72                          // convert bf16 to fp32
_v_mac_f32 v[vgprValuC+73], v4, s[sgprBeta]        // finalSum = sum*alpha + C*beta
v_cmp_u_f32 s[32:33], v[vgprValuC+73], v[vgprValuC+73] // check Nan
v_bfe_u32 v6, v[vgprValuC+73], 16, 1               // Non-Nan case: store lsb of bf16
v_add3_u32 v6, v[vgprValuC+73], v6, v9             // Non-Nan case: add lsb and the increment for rounding
v_cndmask_b32 v[vgprValuC+73], v6, v8, s[32:33]    // 
v_lshrrev_b32 v[vgprValuC+73], 16, v[vgprValuC+73] // convert C to bf16
s_lshl_b32  s32, s[sgprStrideD1J], 1               // incToNextRow: Scale by BPE
s_add_u32  s[sgprSrdD+0], s[sgprSrdD+0], s32       // incToNextRow: gra SRD += inc(lower)
s_addc_u32  s[sgprSrdD+1], s[sgprSrdD+1], 0        // incToNextRow: gra SRD += inc(upper)
_buffer_store_b16 v73, v10, s[sgprSrdD:sgprSrdD+3], 0, offen, offset:0,  sc0 sc1 // store D

s_waitcnt vmcnt(63)                                // wait C (interleaved) 71 = 72 - 31 + 31 - 1
v_lshlrev_b32 v4, 16, v74                          // convert bf16 to fp32
_v_mac_f32 v[vgprValuC+75], v4, s[sgprBeta]        // finalSum = sum*alpha + C*beta
v_cmp_u_f32 s[32:33], v[vgprValuC+75], v[vgprValuC+75] // check Nan
v_bfe_u32 v6, v[vgprValuC+75], 16, 1               // Non-Nan case: store lsb of bf16
v_add3_u32 v6, v[vgprValuC+75], v6, v9             // Non-Nan case: add lsb and the increment for rounding
v_cndmask_b32 v[vgprValuC+75], v6, v8, s[32:33]    // 
v_lshrrev_b32 v[vgprValuC+75], 16, v[vgprValuC+75] // convert C to bf16
_buffer_store_b16 v75, v10, s[sgprSrdD:sgprSrdD+3], 0, offen, offset:64,  sc0 sc1 // store D

s_waitcnt vmcnt(63)                                // wait C (interleaved) 71 = 72 - 32 + 32 - 1
v_lshlrev_b32 v4, 16, v76                          // convert bf16 to fp32
_v_mac_f32 v[vgprValuC+77], v4, s[sgprBeta]        // finalSum = sum*alpha + C*beta
v_cmp_u_f32 s[32:33], v[vgprValuC+77], v[vgprValuC+77] // check Nan
v_bfe_u32 v6, v[vgprValuC+77], 16, 1               // Non-Nan case: store lsb of bf16
v_add3_u32 v6, v[vgprValuC+77], v6, v9             // Non-Nan case: add lsb and the increment for rounding
v_cndmask_b32 v[vgprValuC+77], v6, v8, s[32:33]    // 
v_lshrrev_b32 v[vgprValuC+77], 16, v[vgprValuC+77] // convert C to bf16
_buffer_store_b16 v77, v10, s[sgprSrdD:sgprSrdD+3], 0, offen, offset:128,  sc0 sc1 // store D

s_waitcnt vmcnt(63)                                // wait C (interleaved) 71 = 72 - 33 + 33 - 1
v_lshlrev_b32 v4, 16, v78                          // convert bf16 to fp32
_v_mac_f32 v[vgprValuC+79], v4, s[sgprBeta]        // finalSum = sum*alpha + C*beta
v_cmp_u_f32 s[32:33], v[vgprValuC+79], v[vgprValuC+79] // check Nan
v_bfe_u32 v6, v[vgprValuC+79], 16, 1               // Non-Nan case: store lsb of bf16
v_add3_u32 v6, v[vgprValuC+79], v6, v9             // Non-Nan case: add lsb and the increment for rounding
v_cndmask_b32 v[vgprValuC+79], v6, v8, s[32:33]    // 
v_lshrrev_b32 v[vgprValuC+79], 16, v[vgprValuC+79] // convert C to bf16
_buffer_store_b16 v79, v10, s[sgprSrdD:sgprSrdD+3], 0, offen, offset:192,  sc0 sc1 // store D

s_waitcnt vmcnt(63)                                // wait C (interleaved) 71 = 72 - 34 + 34 - 1
v_lshlrev_b32 v4, 16, v80                          // convert bf16 to fp32
_v_mac_f32 v[vgprValuC+81], v4, s[sgprBeta]        // finalSum = sum*alpha + C*beta
v_cmp_u_f32 s[32:33], v[vgprValuC+81], v[vgprValuC+81] // check Nan
v_bfe_u32 v6, v[vgprValuC+81], 16, 1               // Non-Nan case: store lsb of bf16
v_add3_u32 v6, v[vgprValuC+81], v6, v9             // Non-Nan case: add lsb and the increment for rounding
v_cndmask_b32 v[vgprValuC+81], v6, v8, s[32:33]    // 
v_lshrrev_b32 v[vgprValuC+81], 16, v[vgprValuC+81] // convert C to bf16
_buffer_store_b16 v81, v10, s[sgprSrdD:sgprSrdD+3], 0, offen, offset:256,  sc0 sc1 // store D

s_waitcnt vmcnt(63)                                // wait C (interleaved) 71 = 72 - 35 + 35 - 1
v_lshlrev_b32 v4, 16, v82                          // convert bf16 to fp32
_v_mac_f32 v[vgprValuC+83], v4, s[sgprBeta]        // finalSum = sum*alpha + C*beta
v_cmp_u_f32 s[32:33], v[vgprValuC+83], v[vgprValuC+83] // check Nan
v_bfe_u32 v6, v[vgprValuC+83], 16, 1               // Non-Nan case: store lsb of bf16
v_add3_u32 v6, v[vgprValuC+83], v6, v9             // Non-Nan case: add lsb and the increment for rounding
v_cndmask_b32 v[vgprValuC+83], v6, v8, s[32:33]    // 
v_lshrrev_b32 v[vgprValuC+83], 16, v[vgprValuC+83] // convert C to bf16
_buffer_store_b16 v83, v10, s[sgprSrdD:sgprSrdD+3], 0, offen, offset:320,  sc0 sc1 // store D

s_waitcnt vmcnt(63)                                // wait C (interleaved) 71 = 72 - 36 + 36 - 1
v_lshlrev_b32 v4, 16, v84                          // convert bf16 to fp32
_v_mac_f32 v[vgprValuC+85], v4, s[sgprBeta]        // finalSum = sum*alpha + C*beta
v_cmp_u_f32 s[32:33], v[vgprValuC+85], v[vgprValuC+85] // check Nan
v_bfe_u32 v6, v[vgprValuC+85], 16, 1               // Non-Nan case: store lsb of bf16
v_add3_u32 v6, v[vgprValuC+85], v6, v9             // Non-Nan case: add lsb and the increment for rounding
v_cndmask_b32 v[vgprValuC+85], v6, v8, s[32:33]    // 
v_lshrrev_b32 v[vgprValuC+85], 16, v[vgprValuC+85] // convert C to bf16
s_lshl_b32  s32, s[sgprStrideD1J], 1               // incToNextRow: Scale by BPE
	;; [unrolled: 63-line block ×3, first 2 shown]
s_add_u32  s[sgprSrdD+0], s[sgprSrdD+0], s32       // incToNextRow: gra SRD += inc(lower)
s_addc_u32  s[sgprSrdD+1], s[sgprSrdD+1], 0        // incToNextRow: gra SRD += inc(upper)
_buffer_store_b16 v97, v10, s[sgprSrdD:sgprSrdD+3], 0, offen, offset:0,  sc0 sc1 // store D

s_waitcnt vmcnt(63)                                // wait C (interleaved) 71 = 72 - 43 + 43 - 1
v_lshlrev_b32 v4, 16, v98                          // convert bf16 to fp32
_v_mac_f32 v[vgprValuC+99], v4, s[sgprBeta]        // finalSum = sum*alpha + C*beta
v_cmp_u_f32 s[32:33], v[vgprValuC+99], v[vgprValuC+99] // check Nan
v_bfe_u32 v6, v[vgprValuC+99], 16, 1               // Non-Nan case: store lsb of bf16
v_add3_u32 v6, v[vgprValuC+99], v6, v9             // Non-Nan case: add lsb and the increment for rounding
v_cndmask_b32 v[vgprValuC+99], v6, v8, s[32:33]    // 
v_lshrrev_b32 v[vgprValuC+99], 16, v[vgprValuC+99] // convert C to bf16
_buffer_store_b16 v99, v10, s[sgprSrdD:sgprSrdD+3], 0, offen, offset:64,  sc0 sc1 // store D

s_waitcnt vmcnt(63)                                // wait C (interleaved) 71 = 72 - 44 + 44 - 1
v_lshlrev_b32 v4, 16, v100                         // convert bf16 to fp32
_v_mac_f32 v[vgprValuC+101], v4, s[sgprBeta]       // finalSum = sum*alpha + C*beta
v_cmp_u_f32 s[32:33], v[vgprValuC+101], v[vgprValuC+101] // check Nan
v_bfe_u32 v6, v[vgprValuC+101], 16, 1              // Non-Nan case: store lsb of bf16
v_add3_u32 v6, v[vgprValuC+101], v6, v9            // Non-Nan case: add lsb and the increment for rounding
v_cndmask_b32 v[vgprValuC+101], v6, v8, s[32:33]   // 
v_lshrrev_b32 v[vgprValuC+101], 16, v[vgprValuC+101] // convert C to bf16
_buffer_store_b16 v101, v10, s[sgprSrdD:sgprSrdD+3], 0, offen, offset:128,  sc0 sc1 // store D

s_waitcnt vmcnt(63)                                // wait C (interleaved) 71 = 72 - 45 + 45 - 1
v_lshlrev_b32 v4, 16, v102                         // convert bf16 to fp32
_v_mac_f32 v[vgprValuC+103], v4, s[sgprBeta]       // finalSum = sum*alpha + C*beta
v_cmp_u_f32 s[32:33], v[vgprValuC+103], v[vgprValuC+103] // check Nan
v_bfe_u32 v6, v[vgprValuC+103], 16, 1              // Non-Nan case: store lsb of bf16
v_add3_u32 v6, v[vgprValuC+103], v6, v9            // Non-Nan case: add lsb and the increment for rounding
v_cndmask_b32 v[vgprValuC+103], v6, v8, s[32:33]   // 
	;; [unrolled: 10-line block ×5, first 2 shown]
v_lshrrev_b32 v[vgprValuC+109], 16, v[vgprValuC+109] // convert C to bf16
s_mul_i32 s32, s[sgprStrideD1J], 58                // scale StrideD *= numRows(29) * bpe
s_add_u32  s[sgprSrdD+0], s[sgprSrdD+0], s32       // incToNextRow: gra SRD += inc(lower)
s_addc_u32  s[sgprSrdD+1], s[sgprSrdD+1], 0        // incToNextRow: gra SRD += inc(upper)
_buffer_store_b16 v109, v10, s[sgprSrdD:sgprSrdD+3], 0, offen, offset:0,  sc0 sc1 // store D

s_waitcnt vmcnt(63)                                // wait C (interleaved) 71 = 72 - 49 + 49 - 1
v_lshlrev_b32 v4, 16, v110                         // convert bf16 to fp32
_v_mac_f32 v[vgprValuC+111], v4, s[sgprBeta]       // finalSum = sum*alpha + C*beta
v_cmp_u_f32 s[32:33], v[vgprValuC+111], v[vgprValuC+111] // check Nan
v_bfe_u32 v6, v[vgprValuC+111], 16, 1              // Non-Nan case: store lsb of bf16
v_add3_u32 v6, v[vgprValuC+111], v6, v9            // Non-Nan case: add lsb and the increment for rounding
v_cndmask_b32 v[vgprValuC+111], v6, v8, s[32:33]   // 
v_lshrrev_b32 v[vgprValuC+111], 16, v[vgprValuC+111] // convert C to bf16
_buffer_store_b16 v111, v10, s[sgprSrdD:sgprSrdD+3], 0, offen, offset:64,  sc0 sc1 // store D

s_waitcnt vmcnt(63)                                // wait C (interleaved) 71 = 72 - 50 + 50 - 1
v_lshlrev_b32 v4, 16, v112                         // convert bf16 to fp32
_v_mac_f32 v[vgprValuC+113], v4, s[sgprBeta]       // finalSum = sum*alpha + C*beta
v_cmp_u_f32 s[32:33], v[vgprValuC+113], v[vgprValuC+113] // check Nan
v_bfe_u32 v6, v[vgprValuC+113], 16, 1              // Non-Nan case: store lsb of bf16
v_add3_u32 v6, v[vgprValuC+113], v6, v9            // Non-Nan case: add lsb and the increment for rounding
v_cndmask_b32 v[vgprValuC+113], v6, v8, s[32:33]   // 
v_lshrrev_b32 v[vgprValuC+113], 16, v[vgprValuC+113] // convert C to bf16
_buffer_store_b16 v113, v10, s[sgprSrdD:sgprSrdD+3], 0, offen, offset:128,  sc0 sc1 // store D

s_waitcnt vmcnt(63)                                // wait C (interleaved) 71 = 72 - 51 + 51 - 1
v_lshlrev_b32 v4, 16, v114                         // convert bf16 to fp32
_v_mac_f32 v[vgprValuC+115], v4, s[sgprBeta]       // finalSum = sum*alpha + C*beta
v_cmp_u_f32 s[32:33], v[vgprValuC+115], v[vgprValuC+115] // check Nan
v_bfe_u32 v6, v[vgprValuC+115], 16, 1              // Non-Nan case: store lsb of bf16
v_add3_u32 v6, v[vgprValuC+115], v6, v9            // Non-Nan case: add lsb and the increment for rounding
v_cndmask_b32 v[vgprValuC+115], v6, v8, s[32:33]   // 
v_lshrrev_b32 v[vgprValuC+115], 16, v[vgprValuC+115] // convert C to bf16
_buffer_store_b16 v115, v10, s[sgprSrdD:sgprSrdD+3], 0, offen, offset:192,  sc0 sc1 // store D

s_waitcnt vmcnt(63)                                // wait C (interleaved) 71 = 72 - 52 + 52 - 1
v_lshlrev_b32 v4, 16, v116                         // convert bf16 to fp32
_v_mac_f32 v[vgprValuC+117], v4, s[sgprBeta]       // finalSum = sum*alpha + C*beta
v_cmp_u_f32 s[32:33], v[vgprValuC+117], v[vgprValuC+117] // check Nan
v_bfe_u32 v6, v[vgprValuC+117], 16, 1              // Non-Nan case: store lsb of bf16
v_add3_u32 v6, v[vgprValuC+117], v6, v9            // Non-Nan case: add lsb and the increment for rounding
v_cndmask_b32 v[vgprValuC+117], v6, v8, s[32:33]   // 
v_lshrrev_b32 v[vgprValuC+117], 16, v[vgprValuC+117] // convert C to bf16
_buffer_store_b16 v117, v10, s[sgprSrdD:sgprSrdD+3], 0, offen, offset:256,  sc0 sc1 // store D

s_waitcnt vmcnt(63)                                // wait C (interleaved) 71 = 72 - 53 + 53 - 1
v_lshlrev_b32 v4, 16, v118                         // convert bf16 to fp32
_v_mac_f32 v[vgprValuC+119], v4, s[sgprBeta]       // finalSum = sum*alpha + C*beta
v_cmp_u_f32 s[32:33], v[vgprValuC+119], v[vgprValuC+119] // check Nan
v_bfe_u32 v6, v[vgprValuC+119], 16, 1              // Non-Nan case: store lsb of bf16
v_add3_u32 v6, v[vgprValuC+119], v6, v9            // Non-Nan case: add lsb and the increment for rounding
v_cndmask_b32 v[vgprValuC+119], v6, v8, s[32:33]   // 
v_lshrrev_b32 v[vgprValuC+119], 16, v[vgprValuC+119] // convert C to bf16
_buffer_store_b16 v119, v10, s[sgprSrdD:sgprSrdD+3], 0, offen, offset:320,  sc0 sc1 // store D

s_waitcnt vmcnt(63)                                // wait C (interleaved) 71 = 72 - 54 + 54 - 1
v_lshlrev_b32 v4, 16, v120                         // convert bf16 to fp32
_v_mac_f32 v[vgprValuC+121], v4, s[sgprBeta]       // finalSum = sum*alpha + C*beta
v_cmp_u_f32 s[32:33], v[vgprValuC+121], v[vgprValuC+121] // check Nan
v_bfe_u32 v6, v[vgprValuC+121], 16, 1              // Non-Nan case: store lsb of bf16
v_add3_u32 v6, v[vgprValuC+121], v6, v9            // Non-Nan case: add lsb and the increment for rounding
v_cndmask_b32 v[vgprValuC+121], v6, v8, s[32:33]   // 
v_lshrrev_b32 v[vgprValuC+121], 16, v[vgprValuC+121] // convert C to bf16
s_lshl_b32  s32, s[sgprStrideD1J], 1               // incToNextRow: Scale by BPE
s_add_u32  s[sgprSrdD+0], s[sgprSrdD+0], s32       // incToNextRow: gra SRD += inc(lower)
s_addc_u32  s[sgprSrdD+1], s[sgprSrdD+1], 0        // incToNextRow: gra SRD += inc(upper)
_buffer_store_b16 v121, v10, s[sgprSrdD:sgprSrdD+3], 0, offen, offset:0,  sc0 sc1 // store D

s_waitcnt vmcnt(63)                                // wait C (interleaved) 71 = 72 - 55 + 55 - 1
v_lshlrev_b32 v4, 16, v122                         // convert bf16 to fp32
_v_mac_f32 v[vgprValuC+123], v4, s[sgprBeta]       // finalSum = sum*alpha + C*beta
v_cmp_u_f32 s[32:33], v[vgprValuC+123], v[vgprValuC+123] // check Nan
v_bfe_u32 v6, v[vgprValuC+123], 16, 1              // Non-Nan case: store lsb of bf16
v_add3_u32 v6, v[vgprValuC+123], v6, v9            // Non-Nan case: add lsb and the increment for rounding
v_cndmask_b32 v[vgprValuC+123], v6, v8, s[32:33]   // 
v_lshrrev_b32 v[vgprValuC+123], 16, v[vgprValuC+123] // convert C to bf16
_buffer_store_b16 v123, v10, s[sgprSrdD:sgprSrdD+3], 0, offen, offset:64,  sc0 sc1 // store D

s_waitcnt vmcnt(63)                                // wait C (interleaved) 71 = 72 - 56 + 56 - 1
v_lshlrev_b32 v4, 16, v124                         // convert bf16 to fp32
_v_mac_f32 v[vgprValuC+125], v4, s[sgprBeta]       // finalSum = sum*alpha + C*beta
v_cmp_u_f32 s[32:33], v[vgprValuC+125], v[vgprValuC+125] // check Nan
v_bfe_u32 v6, v[vgprValuC+125], 16, 1              // Non-Nan case: store lsb of bf16
v_add3_u32 v6, v[vgprValuC+125], v6, v9            // Non-Nan case: add lsb and the increment for rounding
v_cndmask_b32 v[vgprValuC+125], v6, v8, s[32:33]   // 
v_lshrrev_b32 v[vgprValuC+125], 16, v[vgprValuC+125] // convert C to bf16
_buffer_store_b16 v125, v10, s[sgprSrdD:sgprSrdD+3], 0, offen, offset:128,  sc0 sc1 // store D

s_waitcnt vmcnt(63)                                // wait C (interleaved) 71 = 72 - 57 + 57 - 1
v_lshlrev_b32 v4, 16, v126                         // convert bf16 to fp32
_v_mac_f32 v[vgprValuC+127], v4, s[sgprBeta]       // finalSum = sum*alpha + C*beta
v_cmp_u_f32 s[32:33], v[vgprValuC+127], v[vgprValuC+127] // check Nan
v_bfe_u32 v6, v[vgprValuC+127], 16, 1              // Non-Nan case: store lsb of bf16
v_add3_u32 v6, v[vgprValuC+127], v6, v9            // Non-Nan case: add lsb and the increment for rounding
v_cndmask_b32 v[vgprValuC+127], v6, v8, s[32:33]   // 
v_lshrrev_b32 v[vgprValuC+127], 16, v[vgprValuC+127] // convert C to bf16
_buffer_store_b16 v127, v10, s[sgprSrdD:sgprSrdD+3], 0, offen, offset:192,  sc0 sc1 // store D

s_waitcnt vmcnt(63)                                // wait C (interleaved) 71 = 72 - 58 + 58 - 1
v_lshlrev_b32 v4, 16, v128                         // convert bf16 to fp32
_v_mac_f32 v[vgprValuC+129], v4, s[sgprBeta]       // finalSum = sum*alpha + C*beta
v_cmp_u_f32 s[32:33], v[vgprValuC+129], v[vgprValuC+129] // check Nan
v_bfe_u32 v6, v[vgprValuC+129], 16, 1              // Non-Nan case: store lsb of bf16
v_add3_u32 v6, v[vgprValuC+129], v6, v9            // Non-Nan case: add lsb and the increment for rounding
v_cndmask_b32 v[vgprValuC+129], v6, v8, s[32:33]   // 
v_lshrrev_b32 v[vgprValuC+129], 16, v[vgprValuC+129] // convert C to bf16
_buffer_store_b16 v129, v10, s[sgprSrdD:sgprSrdD+3], 0, offen, offset:256,  sc0 sc1 // store D

s_waitcnt vmcnt(63)                                // wait C (interleaved) 71 = 72 - 59 + 59 - 1
v_lshlrev_b32 v4, 16, v130                         // convert bf16 to fp32
_v_mac_f32 v[vgprValuC+131], v4, s[sgprBeta]       // finalSum = sum*alpha + C*beta
v_cmp_u_f32 s[32:33], v[vgprValuC+131], v[vgprValuC+131] // check Nan
v_bfe_u32 v6, v[vgprValuC+131], 16, 1              // Non-Nan case: store lsb of bf16
v_add3_u32 v6, v[vgprValuC+131], v6, v9            // Non-Nan case: add lsb and the increment for rounding
v_cndmask_b32 v[vgprValuC+131], v6, v8, s[32:33]   // 
v_lshrrev_b32 v[vgprValuC+131], 16, v[vgprValuC+131] // convert C to bf16
_buffer_store_b16 v131, v10, s[sgprSrdD:sgprSrdD+3], 0, offen, offset:320,  sc0 sc1 // store D

s_waitcnt vmcnt(63)                                // wait C (interleaved) 71 = 72 - 60 + 60 - 1
v_lshlrev_b32 v4, 16, v132                         // convert bf16 to fp32
_v_mac_f32 v[vgprValuC+133], v4, s[sgprBeta]       // finalSum = sum*alpha + C*beta
v_cmp_u_f32 s[32:33], v[vgprValuC+133], v[vgprValuC+133] // check Nan
v_bfe_u32 v6, v[vgprValuC+133], 16, 1              // Non-Nan case: store lsb of bf16
v_add3_u32 v6, v[vgprValuC+133], v6, v9            // Non-Nan case: add lsb and the increment for rounding
v_cndmask_b32 v[vgprValuC+133], v6, v8, s[32:33]   // 
v_lshrrev_b32 v[vgprValuC+133], 16, v[vgprValuC+133] // convert C to bf16
s_lshl_b32  s32, s[sgprStrideD1J], 1               // incToNextRow: Scale by BPE
s_add_u32  s[sgprSrdD+0], s[sgprSrdD+0], s32       // incToNextRow: gra SRD += inc(lower)
s_addc_u32  s[sgprSrdD+1], s[sgprSrdD+1], 0        // incToNextRow: gra SRD += inc(upper)
_buffer_store_b16 v133, v10, s[sgprSrdD:sgprSrdD+3], 0, offen, offset:0,  sc0 sc1 // store D

s_waitcnt vmcnt(63)                                // wait C (interleaved) 71 = 72 - 61 + 61 - 1
v_lshlrev_b32 v4, 16, v134                         // convert bf16 to fp32
_v_mac_f32 v[vgprValuC+135], v4, s[sgprBeta]       // finalSum = sum*alpha + C*beta
v_cmp_u_f32 s[32:33], v[vgprValuC+135], v[vgprValuC+135] // check Nan
v_bfe_u32 v6, v[vgprValuC+135], 16, 1              // Non-Nan case: store lsb of bf16
v_add3_u32 v6, v[vgprValuC+135], v6, v9            // Non-Nan case: add lsb and the increment for rounding
v_cndmask_b32 v[vgprValuC+135], v6, v8, s[32:33]   // 
v_lshrrev_b32 v[vgprValuC+135], 16, v[vgprValuC+135] // convert C to bf16
_buffer_store_b16 v135, v10, s[sgprSrdD:sgprSrdD+3], 0, offen, offset:64,  sc0 sc1 // store D

s_waitcnt vmcnt(63)                                // wait C (interleaved) 71 = 72 - 62 + 62 - 1
v_lshlrev_b32 v4, 16, v136                         // convert bf16 to fp32
_v_mac_f32 v[vgprValuC+137], v4, s[sgprBeta]       // finalSum = sum*alpha + C*beta
v_cmp_u_f32 s[32:33], v[vgprValuC+137], v[vgprValuC+137] // check Nan
v_bfe_u32 v6, v[vgprValuC+137], 16, 1              // Non-Nan case: store lsb of bf16
v_add3_u32 v6, v[vgprValuC+137], v6, v9            // Non-Nan case: add lsb and the increment for rounding
v_cndmask_b32 v[vgprValuC+137], v6, v8, s[32:33]   // 
v_lshrrev_b32 v[vgprValuC+137], 16, v[vgprValuC+137] // convert C to bf16
_buffer_store_b16 v137, v10, s[sgprSrdD:sgprSrdD+3], 0, offen, offset:128,  sc0 sc1 // store D

s_waitcnt vmcnt(63)                                // wait C (interleaved) 71 = 72 - 63 + 63 - 1
v_lshlrev_b32 v4, 16, v138                         // convert bf16 to fp32
_v_mac_f32 v[vgprValuC+139], v4, s[sgprBeta]       // finalSum = sum*alpha + C*beta
v_cmp_u_f32 s[32:33], v[vgprValuC+139], v[vgprValuC+139] // check Nan
v_bfe_u32 v6, v[vgprValuC+139], 16, 1              // Non-Nan case: store lsb of bf16
v_add3_u32 v6, v[vgprValuC+139], v6, v9            // Non-Nan case: add lsb and the increment for rounding
v_cndmask_b32 v[vgprValuC+139], v6, v8, s[32:33]   // 
v_lshrrev_b32 v[vgprValuC+139], 16, v[vgprValuC+139] // convert C to bf16
_buffer_store_b16 v139, v10, s[sgprSrdD:sgprSrdD+3], 0, offen, offset:192,  sc0 sc1 // store D

s_waitcnt vmcnt(63)                                // wait C (interleaved) 71 = 72 - 64 + 64 - 1
v_lshlrev_b32 v4, 16, v140                         // convert bf16 to fp32
_v_mac_f32 v[vgprValuC+141], v4, s[sgprBeta]       // finalSum = sum*alpha + C*beta
v_cmp_u_f32 s[32:33], v[vgprValuC+141], v[vgprValuC+141] // check Nan
v_bfe_u32 v6, v[vgprValuC+141], 16, 1              // Non-Nan case: store lsb of bf16
v_add3_u32 v6, v[vgprValuC+141], v6, v9            // Non-Nan case: add lsb and the increment for rounding
v_cndmask_b32 v[vgprValuC+141], v6, v8, s[32:33]   // 
v_lshrrev_b32 v[vgprValuC+141], 16, v[vgprValuC+141] // convert C to bf16
_buffer_store_b16 v141, v10, s[sgprSrdD:sgprSrdD+3], 0, offen, offset:256,  sc0 sc1 // store D

s_waitcnt vmcnt(63)                                // wait C (interleaved) 71 = 72 - 65 + 65 - 1
v_lshlrev_b32 v4, 16, v142                         // convert bf16 to fp32
_v_mac_f32 v[vgprValuC+143], v4, s[sgprBeta]       // finalSum = sum*alpha + C*beta
v_cmp_u_f32 s[32:33], v[vgprValuC+143], v[vgprValuC+143] // check Nan
v_bfe_u32 v6, v[vgprValuC+143], 16, 1              // Non-Nan case: store lsb of bf16
v_add3_u32 v6, v[vgprValuC+143], v6, v9            // Non-Nan case: add lsb and the increment for rounding
v_cndmask_b32 v[vgprValuC+143], v6, v8, s[32:33]   // 
v_lshrrev_b32 v[vgprValuC+143], 16, v[vgprValuC+143] // convert C to bf16
_buffer_store_b16 v143, v10, s[sgprSrdD:sgprSrdD+3], 0, offen, offset:320,  sc0 sc1 // store D

s_waitcnt vmcnt(63)                                // wait C (interleaved) 71 = 72 - 66 + 66 - 1
v_lshlrev_b32 v4, 16, v144                         // convert bf16 to fp32
_v_mac_f32 v[vgprValuC+145], v4, s[sgprBeta]       // finalSum = sum*alpha + C*beta
v_cmp_u_f32 s[32:33], v[vgprValuC+145], v[vgprValuC+145] // check Nan
v_bfe_u32 v6, v[vgprValuC+145], 16, 1              // Non-Nan case: store lsb of bf16
v_add3_u32 v6, v[vgprValuC+145], v6, v9            // Non-Nan case: add lsb and the increment for rounding
v_cndmask_b32 v[vgprValuC+145], v6, v8, s[32:33]   // 
v_lshrrev_b32 v[vgprValuC+145], 16, v[vgprValuC+145] // convert C to bf16
s_lshl_b32  s32, s[sgprStrideD1J], 1               // incToNextRow: Scale by BPE
s_add_u32  s[sgprSrdD+0], s[sgprSrdD+0], s32       // incToNextRow: gra SRD += inc(lower)
s_addc_u32  s[sgprSrdD+1], s[sgprSrdD+1], 0        // incToNextRow: gra SRD += inc(upper)
_buffer_store_b16 v145, v10, s[sgprSrdD:sgprSrdD+3], 0, offen, offset:0,  sc0 sc1 // store D

s_waitcnt vmcnt(63)                                // wait C (interleaved) 71 = 72 - 67 + 67 - 1
v_lshlrev_b32 v4, 16, v146                         // convert bf16 to fp32
_v_mac_f32 v[vgprValuC+147], v4, s[sgprBeta]       // finalSum = sum*alpha + C*beta
v_cmp_u_f32 s[32:33], v[vgprValuC+147], v[vgprValuC+147] // check Nan
v_bfe_u32 v6, v[vgprValuC+147], 16, 1              // Non-Nan case: store lsb of bf16
v_add3_u32 v6, v[vgprValuC+147], v6, v9            // Non-Nan case: add lsb and the increment for rounding
v_cndmask_b32 v[vgprValuC+147], v6, v8, s[32:33]   // 
v_lshrrev_b32 v[vgprValuC+147], 16, v[vgprValuC+147] // convert C to bf16
_buffer_store_b16 v147, v10, s[sgprSrdD:sgprSrdD+3], 0, offen, offset:64,  sc0 sc1 // store D

s_waitcnt vmcnt(63)                                // wait C (interleaved) 71 = 72 - 68 + 68 - 1
v_lshlrev_b32 v4, 16, v148                         // convert bf16 to fp32
_v_mac_f32 v[vgprValuC+149], v4, s[sgprBeta]       // finalSum = sum*alpha + C*beta
v_cmp_u_f32 s[32:33], v[vgprValuC+149], v[vgprValuC+149] // check Nan
v_bfe_u32 v6, v[vgprValuC+149], 16, 1              // Non-Nan case: store lsb of bf16
v_add3_u32 v6, v[vgprValuC+149], v6, v9            // Non-Nan case: add lsb and the increment for rounding
v_cndmask_b32 v[vgprValuC+149], v6, v8, s[32:33]   // 
v_lshrrev_b32 v[vgprValuC+149], 16, v[vgprValuC+149] // convert C to bf16
	;; [unrolled: 10-line block ×5, first 2 shown]
_buffer_store_b16 v155, v10, s[sgprSrdD:sgprSrdD+3], 0, offen, offset:320,  sc0 sc1 // store D
s_nop 0                                            // 1 wait state required when next inst writes vgprs held by previous dwordx4 store inst
s_branch label_GW_End_44                           // jump to end
GW_B1_E1_43:

/* edge=1, allocate 6 sgpr. perBatchTmpS=4 perBatchMaskS=2 perElementMaskS=0 elementsPerBatch=80 */
/* optSingleColVgpr=0 optSharedColVgpr=0 optSGPRUsage=BufferLoad_Edge_Mask optSrdIncForRow=0 */
s_sleep 5 // optimization: sync and wait
s_barrier

/******************************************/
/* Global Write Alpha Beta Edge Batch #0 (d1,d0,vc1,vc0) = */
/*    (0,0,0,0:vw1); (0,1,0,0:vw1); (0,2,0,0:vw1); (0,3,0,0:vw1); (0,4,0,0:vw1); (0,5,0,0:vw1); (0,0,1,0:vw1); (0,1,1,0:vw1); (0,2,1,0:vw1); (0,3,1,0:vw1); (0,4,1,0:vw1); (0,5,1,0:vw1); (0,0,2,0:vw1); (0,1,2,0:vw1); (0,2,2,0:vw1); (0,3,2,0:vw1); (0,4,2,0:vw1); (0,5,2,0:vw1); (0,0,3,0:vw1); (0,1,3,0:vw1); (0,2,3,0:vw1); (0,3,3,0:vw1); (0,4,3,0:vw1); (0,5,3,0:vw1); (1,0,0,0:vw1); (1,1,0,0:vw1); (1,2,0,0:vw1); (1,3,0,0:vw1); (1,4,0,0:vw1); (1,5,0,0:vw1); (1,0,1,0:vw1); (1,1,1,0:vw1); (1,2,1,0:vw1); (1,3,1,0:vw1); (1,4,1,0:vw1); (1,5,1,0:vw1); (1,0,2,0:vw1); (1,1,2,0:vw1); (1,2,2,0:vw1); (1,3,2,0:vw1); (1,4,2,0:vw1); (1,5,2,0:vw1); (1,0,3,0:vw1); (1,1,3,0:vw1); (1,2,3,0:vw1); (1,3,3,0:vw1); (1,4,3,0:vw1); (1,5,3,0:vw1); (2,0,0,0:vw1); (2,1,0,0:vw1); (2,2,0,0:vw1); (2,3,0,0:vw1); (2,4,0,0:vw1); (2,5,0,0:vw1); (2,0,1,0:vw1); (2,1,1,0:vw1); (2,2,1,0:vw1); (2,3,1,0:vw1); (2,4,1,0:vw1); (2,5,1,0:vw1); (2,0,2,0:vw1); (2,1,2,0:vw1); (2,2,2,0:vw1); (2,3,2,0:vw1); (2,4,2,0:vw1); (2,5,2,0:vw1); (2,0,3,0:vw1); (2,1,3,0:vw1); (2,2,3,0:vw1); (2,3,3,0:vw1); (2,4,3,0:vw1); (2,5,3,0:vw1); (3,0,0,0:vw1); (3,1,0,0:vw1); (3,2,0,0:vw1); (3,3,0,0:vw1); (3,4,0,0:vw1); (3,5,0,0:vw1); (3,0,1,0:vw1); (3,1,1,0:vw1) */
/******************************************/

/* calc coords, apply mask, and issue loads (if necessary) */
/* (d1,vc1,d0,vc0)=(0,0,0,0) */
v_cmp_lt_u32 s[52:53], v0, s[sgprSizeI]            // coord0 < size0
v_cmp_lt_u32 s[56:57], v1, s[sgprSizeJ]            // coord1 < size1
s_and_b64 s[56:57], s[52:53], s[56:57]             // in0 && in1
_v_add_lshl_u32 v10, v2, v0, 0x1                   // scaleToBpe: accumulate d0 lower and *= bpe into Cin addr
v_cndmask_b32 v10, -1, v10, s[56:57]               // LDC clip if OOB. offset
_buffer_load_d16_b16 v11, v10, s[sgprSrdC:sgprSrdC+3], 0, offen offset:0,  sc0 sc1 // load C for beta calc
_v_add_lshl_u32 v10, v3, v0, 0x1                   // scaleToBpe: accumulate d0 lower and *= bpe into Cin addr
v_cndmask_b32 v10, -1, v10, s[56:57]               // LDD clip if OOB. offset
/* (d1,vc1,d0,vc0)=(0,0,1,0) */
_v_add_co_u32 v4, vcc, v0, 32                      // coord0.1: coord0 += d0*sg0*VW + vc0
v_cmp_lt_u32 s[52:53], v4, s[sgprSizeI]            // coord0 < size0
v_cmp_lt_u32 s[56:57], v1, s[sgprSizeJ]            // coord1 < size1
s_and_b64 s[56:57], s[52:53], s[56:57]             // in0 && in1
_v_add_lshl_u32 v13, v2, v4, 0x1                   // scaleToBpe: accumulate d0 lower and *= bpe into Cin addr
v_cndmask_b32 v13, -1, v13, s[56:57]               // LDC clip if OOB. offset
_buffer_load_d16_b16 v14, v13, s[sgprSrdC:sgprSrdC+3], 0, offen offset:0,  sc0 sc1 // load C for beta calc
_v_add_lshl_u32 v13, v3, v4, 0x1                   // scaleToBpe: accumulate d0 lower and *= bpe into Cin addr
v_cndmask_b32 v13, -1, v13, s[56:57]               // LDD clip if OOB. offset
/* (d1,vc1,d0,vc0)=(0,0,2,0) */
_v_add_co_u32 v4, vcc, v0, 64                      // coord0.1: coord0 += d0*sg0*VW + vc0
v_cmp_lt_u32 s[52:53], v4, s[sgprSizeI]            // coord0 < size0
v_cmp_lt_u32 s[56:57], v1, s[sgprSizeJ]            // coord1 < size1
s_and_b64 s[56:57], s[52:53], s[56:57]             // in0 && in1
_v_add_lshl_u32 v16, v2, v4, 0x1                   // scaleToBpe: accumulate d0 lower and *= bpe into Cin addr
v_cndmask_b32 v16, -1, v16, s[56:57]               // LDC clip if OOB. offset
_buffer_load_d16_b16 v17, v16, s[sgprSrdC:sgprSrdC+3], 0, offen offset:0,  sc0 sc1 // load C for beta calc
_v_add_lshl_u32 v16, v3, v4, 0x1                   // scaleToBpe: accumulate d0 lower and *= bpe into Cin addr
v_cndmask_b32 v16, -1, v16, s[56:57]               // LDD clip if OOB. offset
/* (d1,vc1,d0,vc0)=(0,0,3,0) */
s_mov_b32 s52, 96                                  // coordOffset0 d0=3 vc0=0
_v_add_co_u32 v4, vcc, v0, s52                     // coord0.2: coord0 += d0*sg0*VW + vc0
v_cmp_lt_u32 s[52:53], v4, s[sgprSizeI]            // coord0 < size0
v_cmp_lt_u32 s[56:57], v1, s[sgprSizeJ]            // coord1 < size1
s_and_b64 s[56:57], s[52:53], s[56:57]             // in0 && in1
_v_add_lshl_u32 v19, v2, v4, 0x1                   // scaleToBpe: accumulate d0 lower and *= bpe into Cin addr
v_cndmask_b32 v19, -1, v19, s[56:57]               // LDC clip if OOB. offset
_buffer_load_d16_b16 v20, v19, s[sgprSrdC:sgprSrdC+3], 0, offen offset:0,  sc0 sc1 // load C for beta calc
_v_add_lshl_u32 v19, v3, v4, 0x1                   // scaleToBpe: accumulate d0 lower and *= bpe into Cin addr
v_cndmask_b32 v19, -1, v19, s[56:57]               // LDD clip if OOB. offset
/* (d1,vc1,d0,vc0)=(0,0,4,0) */
s_mov_b32 s52, 128                                 // coordOffset0 d0=4 vc0=0
_v_add_co_u32 v4, vcc, v0, s52                     // coord0.2: coord0 += d0*sg0*VW + vc0
v_cmp_lt_u32 s[52:53], v4, s[sgprSizeI]            // coord0 < size0
v_cmp_lt_u32 s[56:57], v1, s[sgprSizeJ]            // coord1 < size1
s_and_b64 s[56:57], s[52:53], s[56:57]             // in0 && in1
_v_add_lshl_u32 v22, v2, v4, 0x1                   // scaleToBpe: accumulate d0 lower and *= bpe into Cin addr
v_cndmask_b32 v22, -1, v22, s[56:57]               // LDC clip if OOB. offset
_buffer_load_d16_b16 v23, v22, s[sgprSrdC:sgprSrdC+3], 0, offen offset:0,  sc0 sc1 // load C for beta calc
_v_add_lshl_u32 v22, v3, v4, 0x1                   // scaleToBpe: accumulate d0 lower and *= bpe into Cin addr
v_cndmask_b32 v22, -1, v22, s[56:57]               // LDD clip if OOB. offset
/* (d1,vc1,d0,vc0)=(0,0,5,0) */
s_mov_b32 s52, 160                                 // coordOffset0 d0=5 vc0=0
_v_add_co_u32 v4, vcc, v0, s52                     // coord0.2: coord0 += d0*sg0*VW + vc0
v_cmp_lt_u32 s[52:53], v4, s[sgprSizeI]            // coord0 < size0
v_cmp_lt_u32 s[56:57], v1, s[sgprSizeJ]            // coord1 < size1
s_and_b64 s[56:57], s[52:53], s[56:57]             // in0 && in1
_v_add_lshl_u32 v25, v2, v4, 0x1                   // scaleToBpe: accumulate d0 lower and *= bpe into Cin addr
v_cndmask_b32 v25, -1, v25, s[56:57]               // LDC clip if OOB. offset
_buffer_load_d16_b16 v26, v25, s[sgprSrdC:sgprSrdC+3], 0, offen offset:0,  sc0 sc1 // load C for beta calc
_v_add_lshl_u32 v25, v3, v4, 0x1                   // scaleToBpe: accumulate d0 lower and *= bpe into Cin addr
v_cndmask_b32 v25, -1, v25, s[56:57]               // LDD clip if OOB. offset
/* (d1,vc1,d0,vc0)=(0,1,0,0) */
_v_add_co_u32 v1, vcc, v1, 1                       // coord1.1: coord1Vgpr += d1*sg1*VW + vc1

/* Fix for UseInitialStridesCD, emitAddressSetupCode */
_v_add_u32 v2, v2, s[sgprStrideC1J]                // ROWINC- Move cinRowPtr to next row
_v_add_u32 v3, v3, s[sgprStrideD1J]                // Move coutRowPtr to next row
v_cmp_lt_u32 s[52:53], v0, s[sgprSizeI]            // coord0 < size0
v_cmp_lt_u32 s[56:57], v1, s[sgprSizeJ]            // coord1 < size1
s_and_b64 s[56:57], s[52:53], s[56:57]             // in0 && in1
_v_add_lshl_u32 v28, v2, v0, 0x1                   // scaleToBpe: accumulate d0 lower and *= bpe into Cin addr
v_cndmask_b32 v28, -1, v28, s[56:57]               // LDC clip if OOB. offset
_buffer_load_d16_b16 v29, v28, s[sgprSrdC:sgprSrdC+3], 0, offen offset:0,  sc0 sc1 // load C for beta calc
_v_add_lshl_u32 v28, v3, v0, 0x1                   // scaleToBpe: accumulate d0 lower and *= bpe into Cin addr
v_cndmask_b32 v28, -1, v28, s[56:57]               // LDD clip if OOB. offset
/* (d1,vc1,d0,vc0)=(0,1,1,0) */
_v_add_co_u32 v4, vcc, v0, 32                      // coord0.1: coord0 += d0*sg0*VW + vc0
v_cmp_lt_u32 s[52:53], v4, s[sgprSizeI]            // coord0 < size0
v_cmp_lt_u32 s[56:57], v1, s[sgprSizeJ]            // coord1 < size1
s_and_b64 s[56:57], s[52:53], s[56:57]             // in0 && in1
_v_add_lshl_u32 v31, v2, v4, 0x1                   // scaleToBpe: accumulate d0 lower and *= bpe into Cin addr
v_cndmask_b32 v31, -1, v31, s[56:57]               // LDC clip if OOB. offset
_buffer_load_d16_b16 v32, v31, s[sgprSrdC:sgprSrdC+3], 0, offen offset:0,  sc0 sc1 // load C for beta calc
_v_add_lshl_u32 v31, v3, v4, 0x1                   // scaleToBpe: accumulate d0 lower and *= bpe into Cin addr
v_cndmask_b32 v31, -1, v31, s[56:57]               // LDD clip if OOB. offset
/* (d1,vc1,d0,vc0)=(0,1,2,0) */
_v_add_co_u32 v4, vcc, v0, 64                      // coord0.1: coord0 += d0*sg0*VW + vc0
v_cmp_lt_u32 s[52:53], v4, s[sgprSizeI]            // coord0 < size0
v_cmp_lt_u32 s[56:57], v1, s[sgprSizeJ]            // coord1 < size1
s_and_b64 s[56:57], s[52:53], s[56:57]             // in0 && in1
_v_add_lshl_u32 v34, v2, v4, 0x1                   // scaleToBpe: accumulate d0 lower and *= bpe into Cin addr
v_cndmask_b32 v34, -1, v34, s[56:57]               // LDC clip if OOB. offset
_buffer_load_d16_b16 v35, v34, s[sgprSrdC:sgprSrdC+3], 0, offen offset:0,  sc0 sc1 // load C for beta calc
_v_add_lshl_u32 v34, v3, v4, 0x1                   // scaleToBpe: accumulate d0 lower and *= bpe into Cin addr
v_cndmask_b32 v34, -1, v34, s[56:57]               // LDD clip if OOB. offset
/* (d1,vc1,d0,vc0)=(0,1,3,0) */
s_mov_b32 s52, 96                                  // coordOffset0 d0=3 vc0=0
_v_add_co_u32 v4, vcc, v0, s52                     // coord0.2: coord0 += d0*sg0*VW + vc0
v_cmp_lt_u32 s[52:53], v4, s[sgprSizeI]            // coord0 < size0
v_cmp_lt_u32 s[56:57], v1, s[sgprSizeJ]            // coord1 < size1
s_and_b64 s[56:57], s[52:53], s[56:57]             // in0 && in1
_v_add_lshl_u32 v37, v2, v4, 0x1                   // scaleToBpe: accumulate d0 lower and *= bpe into Cin addr
v_cndmask_b32 v37, -1, v37, s[56:57]               // LDC clip if OOB. offset
_buffer_load_d16_b16 v38, v37, s[sgprSrdC:sgprSrdC+3], 0, offen offset:0,  sc0 sc1 // load C for beta calc
_v_add_lshl_u32 v37, v3, v4, 0x1                   // scaleToBpe: accumulate d0 lower and *= bpe into Cin addr
v_cndmask_b32 v37, -1, v37, s[56:57]               // LDD clip if OOB. offset
/* (d1,vc1,d0,vc0)=(0,1,4,0) */
s_mov_b32 s52, 128                                 // coordOffset0 d0=4 vc0=0
_v_add_co_u32 v4, vcc, v0, s52                     // coord0.2: coord0 += d0*sg0*VW + vc0
v_cmp_lt_u32 s[52:53], v4, s[sgprSizeI]            // coord0 < size0
v_cmp_lt_u32 s[56:57], v1, s[sgprSizeJ]            // coord1 < size1
s_and_b64 s[56:57], s[52:53], s[56:57]             // in0 && in1
_v_add_lshl_u32 v40, v2, v4, 0x1                   // scaleToBpe: accumulate d0 lower and *= bpe into Cin addr
v_cndmask_b32 v40, -1, v40, s[56:57]               // LDC clip if OOB. offset
_buffer_load_d16_b16 v41, v40, s[sgprSrdC:sgprSrdC+3], 0, offen offset:0,  sc0 sc1 // load C for beta calc
_v_add_lshl_u32 v40, v3, v4, 0x1                   // scaleToBpe: accumulate d0 lower and *= bpe into Cin addr
v_cndmask_b32 v40, -1, v40, s[56:57]               // LDD clip if OOB. offset
/* (d1,vc1,d0,vc0)=(0,1,5,0) */
s_mov_b32 s52, 160                                 // coordOffset0 d0=5 vc0=0
_v_add_co_u32 v4, vcc, v0, s52                     // coord0.2: coord0 += d0*sg0*VW + vc0
v_cmp_lt_u32 s[52:53], v4, s[sgprSizeI]            // coord0 < size0
v_cmp_lt_u32 s[56:57], v1, s[sgprSizeJ]            // coord1 < size1
s_and_b64 s[56:57], s[52:53], s[56:57]             // in0 && in1
_v_add_lshl_u32 v43, v2, v4, 0x1                   // scaleToBpe: accumulate d0 lower and *= bpe into Cin addr
v_cndmask_b32 v43, -1, v43, s[56:57]               // LDC clip if OOB. offset
_buffer_load_d16_b16 v44, v43, s[sgprSrdC:sgprSrdC+3], 0, offen offset:0,  sc0 sc1 // load C for beta calc
_v_add_lshl_u32 v43, v3, v4, 0x1                   // scaleToBpe: accumulate d0 lower and *= bpe into Cin addr
v_cndmask_b32 v43, -1, v43, s[56:57]               // LDD clip if OOB. offset
/* (d1,vc1,d0,vc0)=(0,2,0,0) */
_v_add_co_u32 v1, vcc, v1, 1                       // coord1.1: coord1Vgpr += d1*sg1*VW + vc1

/* Fix for UseInitialStridesCD, emitAddressSetupCode */
_v_add_u32 v2, v2, s[sgprStrideC1J]                // ROWINC- Move cinRowPtr to next row
_v_add_u32 v3, v3, s[sgprStrideD1J]                // Move coutRowPtr to next row
v_cmp_lt_u32 s[52:53], v0, s[sgprSizeI]            // coord0 < size0
v_cmp_lt_u32 s[56:57], v1, s[sgprSizeJ]            // coord1 < size1
s_and_b64 s[56:57], s[52:53], s[56:57]             // in0 && in1
_v_add_lshl_u32 v46, v2, v0, 0x1                   // scaleToBpe: accumulate d0 lower and *= bpe into Cin addr
v_cndmask_b32 v46, -1, v46, s[56:57]               // LDC clip if OOB. offset
_buffer_load_d16_b16 v47, v46, s[sgprSrdC:sgprSrdC+3], 0, offen offset:0,  sc0 sc1 // load C for beta calc
_v_add_lshl_u32 v46, v3, v0, 0x1                   // scaleToBpe: accumulate d0 lower and *= bpe into Cin addr
v_cndmask_b32 v46, -1, v46, s[56:57]               // LDD clip if OOB. offset
/* (d1,vc1,d0,vc0)=(0,2,1,0) */
_v_add_co_u32 v4, vcc, v0, 32                      // coord0.1: coord0 += d0*sg0*VW + vc0
v_cmp_lt_u32 s[52:53], v4, s[sgprSizeI]            // coord0 < size0
v_cmp_lt_u32 s[56:57], v1, s[sgprSizeJ]            // coord1 < size1
s_and_b64 s[56:57], s[52:53], s[56:57]             // in0 && in1
_v_add_lshl_u32 v49, v2, v4, 0x1                   // scaleToBpe: accumulate d0 lower and *= bpe into Cin addr
v_cndmask_b32 v49, -1, v49, s[56:57]               // LDC clip if OOB. offset
_buffer_load_d16_b16 v50, v49, s[sgprSrdC:sgprSrdC+3], 0, offen offset:0,  sc0 sc1 // load C for beta calc
_v_add_lshl_u32 v49, v3, v4, 0x1                   // scaleToBpe: accumulate d0 lower and *= bpe into Cin addr
v_cndmask_b32 v49, -1, v49, s[56:57]               // LDD clip if OOB. offset
/* (d1,vc1,d0,vc0)=(0,2,2,0) */
_v_add_co_u32 v4, vcc, v0, 64                      // coord0.1: coord0 += d0*sg0*VW + vc0
v_cmp_lt_u32 s[52:53], v4, s[sgprSizeI]            // coord0 < size0
v_cmp_lt_u32 s[56:57], v1, s[sgprSizeJ]            // coord1 < size1
s_and_b64 s[56:57], s[52:53], s[56:57]             // in0 && in1
_v_add_lshl_u32 v52, v2, v4, 0x1                   // scaleToBpe: accumulate d0 lower and *= bpe into Cin addr
v_cndmask_b32 v52, -1, v52, s[56:57]               // LDC clip if OOB. offset
_buffer_load_d16_b16 v53, v52, s[sgprSrdC:sgprSrdC+3], 0, offen offset:0,  sc0 sc1 // load C for beta calc
_v_add_lshl_u32 v52, v3, v4, 0x1                   // scaleToBpe: accumulate d0 lower and *= bpe into Cin addr
v_cndmask_b32 v52, -1, v52, s[56:57]               // LDD clip if OOB. offset
/* (d1,vc1,d0,vc0)=(0,2,3,0) */
s_mov_b32 s52, 96                                  // coordOffset0 d0=3 vc0=0
_v_add_co_u32 v4, vcc, v0, s52                     // coord0.2: coord0 += d0*sg0*VW + vc0
v_cmp_lt_u32 s[52:53], v4, s[sgprSizeI]            // coord0 < size0
v_cmp_lt_u32 s[56:57], v1, s[sgprSizeJ]            // coord1 < size1
s_and_b64 s[56:57], s[52:53], s[56:57]             // in0 && in1
_v_add_lshl_u32 v55, v2, v4, 0x1                   // scaleToBpe: accumulate d0 lower and *= bpe into Cin addr
v_cndmask_b32 v55, -1, v55, s[56:57]               // LDC clip if OOB. offset
_buffer_load_d16_b16 v56, v55, s[sgprSrdC:sgprSrdC+3], 0, offen offset:0,  sc0 sc1 // load C for beta calc
_v_add_lshl_u32 v55, v3, v4, 0x1                   // scaleToBpe: accumulate d0 lower and *= bpe into Cin addr
v_cndmask_b32 v55, -1, v55, s[56:57]               // LDD clip if OOB. offset
/* (d1,vc1,d0,vc0)=(0,2,4,0) */
s_mov_b32 s52, 128                                 // coordOffset0 d0=4 vc0=0
_v_add_co_u32 v4, vcc, v0, s52                     // coord0.2: coord0 += d0*sg0*VW + vc0
v_cmp_lt_u32 s[52:53], v4, s[sgprSizeI]            // coord0 < size0
v_cmp_lt_u32 s[56:57], v1, s[sgprSizeJ]            // coord1 < size1
s_and_b64 s[56:57], s[52:53], s[56:57]             // in0 && in1
_v_add_lshl_u32 v58, v2, v4, 0x1                   // scaleToBpe: accumulate d0 lower and *= bpe into Cin addr
v_cndmask_b32 v58, -1, v58, s[56:57]               // LDC clip if OOB. offset
_buffer_load_d16_b16 v59, v58, s[sgprSrdC:sgprSrdC+3], 0, offen offset:0,  sc0 sc1 // load C for beta calc
_v_add_lshl_u32 v58, v3, v4, 0x1                   // scaleToBpe: accumulate d0 lower and *= bpe into Cin addr
v_cndmask_b32 v58, -1, v58, s[56:57]               // LDD clip if OOB. offset
/* (d1,vc1,d0,vc0)=(0,2,5,0) */
s_mov_b32 s52, 160                                 // coordOffset0 d0=5 vc0=0
_v_add_co_u32 v4, vcc, v0, s52                     // coord0.2: coord0 += d0*sg0*VW + vc0
v_cmp_lt_u32 s[52:53], v4, s[sgprSizeI]            // coord0 < size0
v_cmp_lt_u32 s[56:57], v1, s[sgprSizeJ]            // coord1 < size1
s_and_b64 s[56:57], s[52:53], s[56:57]             // in0 && in1
_v_add_lshl_u32 v61, v2, v4, 0x1                   // scaleToBpe: accumulate d0 lower and *= bpe into Cin addr
v_cndmask_b32 v61, -1, v61, s[56:57]               // LDC clip if OOB. offset
_buffer_load_d16_b16 v62, v61, s[sgprSrdC:sgprSrdC+3], 0, offen offset:0,  sc0 sc1 // load C for beta calc
_v_add_lshl_u32 v61, v3, v4, 0x1                   // scaleToBpe: accumulate d0 lower and *= bpe into Cin addr
v_cndmask_b32 v61, -1, v61, s[56:57]               // LDD clip if OOB. offset
/* (d1,vc1,d0,vc0)=(0,3,0,0) */
_v_add_co_u32 v1, vcc, v1, 1                       // coord1.1: coord1Vgpr += d1*sg1*VW + vc1

/* Fix for UseInitialStridesCD, emitAddressSetupCode */
_v_add_u32 v2, v2, s[sgprStrideC1J]                // ROWINC- Move cinRowPtr to next row
_v_add_u32 v3, v3, s[sgprStrideD1J]                // Move coutRowPtr to next row
v_cmp_lt_u32 s[52:53], v0, s[sgprSizeI]            // coord0 < size0
v_cmp_lt_u32 s[56:57], v1, s[sgprSizeJ]            // coord1 < size1
s_and_b64 s[56:57], s[52:53], s[56:57]             // in0 && in1
_v_add_lshl_u32 v64, v2, v0, 0x1                   // scaleToBpe: accumulate d0 lower and *= bpe into Cin addr
v_cndmask_b32 v64, -1, v64, s[56:57]               // LDC clip if OOB. offset
_buffer_load_d16_b16 v65, v64, s[sgprSrdC:sgprSrdC+3], 0, offen offset:0,  sc0 sc1 // load C for beta calc
_v_add_lshl_u32 v64, v3, v0, 0x1                   // scaleToBpe: accumulate d0 lower and *= bpe into Cin addr
v_cndmask_b32 v64, -1, v64, s[56:57]               // LDD clip if OOB. offset
/* (d1,vc1,d0,vc0)=(0,3,1,0) */
_v_add_co_u32 v4, vcc, v0, 32                      // coord0.1: coord0 += d0*sg0*VW + vc0
v_cmp_lt_u32 s[52:53], v4, s[sgprSizeI]            // coord0 < size0
v_cmp_lt_u32 s[56:57], v1, s[sgprSizeJ]            // coord1 < size1
s_and_b64 s[56:57], s[52:53], s[56:57]             // in0 && in1
_v_add_lshl_u32 v67, v2, v4, 0x1                   // scaleToBpe: accumulate d0 lower and *= bpe into Cin addr
v_cndmask_b32 v67, -1, v67, s[56:57]               // LDC clip if OOB. offset
_buffer_load_d16_b16 v68, v67, s[sgprSrdC:sgprSrdC+3], 0, offen offset:0,  sc0 sc1 // load C for beta calc
_v_add_lshl_u32 v67, v3, v4, 0x1                   // scaleToBpe: accumulate d0 lower and *= bpe into Cin addr
v_cndmask_b32 v67, -1, v67, s[56:57]               // LDD clip if OOB. offset
/* (d1,vc1,d0,vc0)=(0,3,2,0) */
_v_add_co_u32 v4, vcc, v0, 64                      // coord0.1: coord0 += d0*sg0*VW + vc0
v_cmp_lt_u32 s[52:53], v4, s[sgprSizeI]            // coord0 < size0
v_cmp_lt_u32 s[56:57], v1, s[sgprSizeJ]            // coord1 < size1
s_and_b64 s[56:57], s[52:53], s[56:57]             // in0 && in1
_v_add_lshl_u32 v70, v2, v4, 0x1                   // scaleToBpe: accumulate d0 lower and *= bpe into Cin addr
v_cndmask_b32 v70, -1, v70, s[56:57]               // LDC clip if OOB. offset
_buffer_load_d16_b16 v71, v70, s[sgprSrdC:sgprSrdC+3], 0, offen offset:0,  sc0 sc1 // load C for beta calc
_v_add_lshl_u32 v70, v3, v4, 0x1                   // scaleToBpe: accumulate d0 lower and *= bpe into Cin addr
v_cndmask_b32 v70, -1, v70, s[56:57]               // LDD clip if OOB. offset
/* (d1,vc1,d0,vc0)=(0,3,3,0) */
s_mov_b32 s52, 96                                  // coordOffset0 d0=3 vc0=0
_v_add_co_u32 v4, vcc, v0, s52                     // coord0.2: coord0 += d0*sg0*VW + vc0
v_cmp_lt_u32 s[52:53], v4, s[sgprSizeI]            // coord0 < size0
v_cmp_lt_u32 s[56:57], v1, s[sgprSizeJ]            // coord1 < size1
s_and_b64 s[56:57], s[52:53], s[56:57]             // in0 && in1
_v_add_lshl_u32 v73, v2, v4, 0x1                   // scaleToBpe: accumulate d0 lower and *= bpe into Cin addr
v_cndmask_b32 v73, -1, v73, s[56:57]               // LDC clip if OOB. offset
_buffer_load_d16_b16 v74, v73, s[sgprSrdC:sgprSrdC+3], 0, offen offset:0,  sc0 sc1 // load C for beta calc
_v_add_lshl_u32 v73, v3, v4, 0x1                   // scaleToBpe: accumulate d0 lower and *= bpe into Cin addr
v_cndmask_b32 v73, -1, v73, s[56:57]               // LDD clip if OOB. offset
/* (d1,vc1,d0,vc0)=(0,3,4,0) */
s_mov_b32 s52, 128                                 // coordOffset0 d0=4 vc0=0
_v_add_co_u32 v4, vcc, v0, s52                     // coord0.2: coord0 += d0*sg0*VW + vc0
v_cmp_lt_u32 s[52:53], v4, s[sgprSizeI]            // coord0 < size0
v_cmp_lt_u32 s[56:57], v1, s[sgprSizeJ]            // coord1 < size1
s_and_b64 s[56:57], s[52:53], s[56:57]             // in0 && in1
_v_add_lshl_u32 v76, v2, v4, 0x1                   // scaleToBpe: accumulate d0 lower and *= bpe into Cin addr
v_cndmask_b32 v76, -1, v76, s[56:57]               // LDC clip if OOB. offset
_buffer_load_d16_b16 v77, v76, s[sgprSrdC:sgprSrdC+3], 0, offen offset:0,  sc0 sc1 // load C for beta calc
_v_add_lshl_u32 v76, v3, v4, 0x1                   // scaleToBpe: accumulate d0 lower and *= bpe into Cin addr
v_cndmask_b32 v76, -1, v76, s[56:57]               // LDD clip if OOB. offset
/* (d1,vc1,d0,vc0)=(0,3,5,0) */
s_mov_b32 s52, 160                                 // coordOffset0 d0=5 vc0=0
_v_add_co_u32 v4, vcc, v0, s52                     // coord0.2: coord0 += d0*sg0*VW + vc0
v_cmp_lt_u32 s[52:53], v4, s[sgprSizeI]            // coord0 < size0
v_cmp_lt_u32 s[56:57], v1, s[sgprSizeJ]            // coord1 < size1
s_and_b64 s[56:57], s[52:53], s[56:57]             // in0 && in1
_v_add_lshl_u32 v79, v2, v4, 0x1                   // scaleToBpe: accumulate d0 lower and *= bpe into Cin addr
v_cndmask_b32 v79, -1, v79, s[56:57]               // LDC clip if OOB. offset
_buffer_load_d16_b16 v80, v79, s[sgprSrdC:sgprSrdC+3], 0, offen offset:0,  sc0 sc1 // load C for beta calc
_v_add_lshl_u32 v79, v3, v4, 0x1                   // scaleToBpe: accumulate d0 lower and *= bpe into Cin addr
v_cndmask_b32 v79, -1, v79, s[56:57]               // LDD clip if OOB. offset
/* (d1,vc1,d0,vc0)=(1,0,0,0) */
_v_add_co_u32 v1, vcc, v1, 29                      // coord1.1: coord1Vgpr += d1*sg1*VW + vc1

/* Fix for UseInitialStridesCD, emitAddressSetupCode */
s_mul_i32 s52, s[sgprStrideC1J], 29                // scale stride
_v_add_u32 v2, v2, s52                             // ROWINC- Move cinRowPtr to next row
s_mul_i32 s52, s[sgprStrideD1J], 29                // scale stride
_v_add_u32 v3, v3, s52                             // Move coutRowPtr to next row
v_cmp_lt_u32 s[52:53], v0, s[sgprSizeI]            // coord0 < size0
v_cmp_lt_u32 s[56:57], v1, s[sgprSizeJ]            // coord1 < size1
s_and_b64 s[56:57], s[52:53], s[56:57]             // in0 && in1
_v_add_lshl_u32 v82, v2, v0, 0x1                   // scaleToBpe: accumulate d0 lower and *= bpe into Cin addr
v_cndmask_b32 v82, -1, v82, s[56:57]               // LDC clip if OOB. offset
_buffer_load_d16_b16 v83, v82, s[sgprSrdC:sgprSrdC+3], 0, offen offset:0,  sc0 sc1 // load C for beta calc
_v_add_lshl_u32 v82, v3, v0, 0x1                   // scaleToBpe: accumulate d0 lower and *= bpe into Cin addr
v_cndmask_b32 v82, -1, v82, s[56:57]               // LDD clip if OOB. offset
/* (d1,vc1,d0,vc0)=(1,0,1,0) */
_v_add_co_u32 v4, vcc, v0, 32                      // coord0.1: coord0 += d0*sg0*VW + vc0
v_cmp_lt_u32 s[52:53], v4, s[sgprSizeI]            // coord0 < size0
v_cmp_lt_u32 s[56:57], v1, s[sgprSizeJ]            // coord1 < size1
s_and_b64 s[56:57], s[52:53], s[56:57]             // in0 && in1
_v_add_lshl_u32 v85, v2, v4, 0x1                   // scaleToBpe: accumulate d0 lower and *= bpe into Cin addr
v_cndmask_b32 v85, -1, v85, s[56:57]               // LDC clip if OOB. offset
_buffer_load_d16_b16 v86, v85, s[sgprSrdC:sgprSrdC+3], 0, offen offset:0,  sc0 sc1 // load C for beta calc
_v_add_lshl_u32 v85, v3, v4, 0x1                   // scaleToBpe: accumulate d0 lower and *= bpe into Cin addr
v_cndmask_b32 v85, -1, v85, s[56:57]               // LDD clip if OOB. offset
/* (d1,vc1,d0,vc0)=(1,0,2,0) */
_v_add_co_u32 v4, vcc, v0, 64                      // coord0.1: coord0 += d0*sg0*VW + vc0
v_cmp_lt_u32 s[52:53], v4, s[sgprSizeI]            // coord0 < size0
v_cmp_lt_u32 s[56:57], v1, s[sgprSizeJ]            // coord1 < size1
s_and_b64 s[56:57], s[52:53], s[56:57]             // in0 && in1
_v_add_lshl_u32 v88, v2, v4, 0x1                   // scaleToBpe: accumulate d0 lower and *= bpe into Cin addr
v_cndmask_b32 v88, -1, v88, s[56:57]               // LDC clip if OOB. offset
_buffer_load_d16_b16 v89, v88, s[sgprSrdC:sgprSrdC+3], 0, offen offset:0,  sc0 sc1 // load C for beta calc
_v_add_lshl_u32 v88, v3, v4, 0x1                   // scaleToBpe: accumulate d0 lower and *= bpe into Cin addr
v_cndmask_b32 v88, -1, v88, s[56:57]               // LDD clip if OOB. offset
/* (d1,vc1,d0,vc0)=(1,0,3,0) */
s_mov_b32 s52, 96                                  // coordOffset0 d0=3 vc0=0
_v_add_co_u32 v4, vcc, v0, s52                     // coord0.2: coord0 += d0*sg0*VW + vc0
v_cmp_lt_u32 s[52:53], v4, s[sgprSizeI]            // coord0 < size0
v_cmp_lt_u32 s[56:57], v1, s[sgprSizeJ]            // coord1 < size1
s_and_b64 s[56:57], s[52:53], s[56:57]             // in0 && in1
_v_add_lshl_u32 v91, v2, v4, 0x1                   // scaleToBpe: accumulate d0 lower and *= bpe into Cin addr
v_cndmask_b32 v91, -1, v91, s[56:57]               // LDC clip if OOB. offset
_buffer_load_d16_b16 v92, v91, s[sgprSrdC:sgprSrdC+3], 0, offen offset:0,  sc0 sc1 // load C for beta calc
_v_add_lshl_u32 v91, v3, v4, 0x1                   // scaleToBpe: accumulate d0 lower and *= bpe into Cin addr
v_cndmask_b32 v91, -1, v91, s[56:57]               // LDD clip if OOB. offset
/* (d1,vc1,d0,vc0)=(1,0,4,0) */
s_mov_b32 s52, 128                                 // coordOffset0 d0=4 vc0=0
_v_add_co_u32 v4, vcc, v0, s52                     // coord0.2: coord0 += d0*sg0*VW + vc0
v_cmp_lt_u32 s[52:53], v4, s[sgprSizeI]            // coord0 < size0
v_cmp_lt_u32 s[56:57], v1, s[sgprSizeJ]            // coord1 < size1
s_and_b64 s[56:57], s[52:53], s[56:57]             // in0 && in1
_v_add_lshl_u32 v94, v2, v4, 0x1                   // scaleToBpe: accumulate d0 lower and *= bpe into Cin addr
v_cndmask_b32 v94, -1, v94, s[56:57]               // LDC clip if OOB. offset
_buffer_load_d16_b16 v95, v94, s[sgprSrdC:sgprSrdC+3], 0, offen offset:0,  sc0 sc1 // load C for beta calc
_v_add_lshl_u32 v94, v3, v4, 0x1                   // scaleToBpe: accumulate d0 lower and *= bpe into Cin addr
v_cndmask_b32 v94, -1, v94, s[56:57]               // LDD clip if OOB. offset
/* (d1,vc1,d0,vc0)=(1,0,5,0) */
s_mov_b32 s52, 160                                 // coordOffset0 d0=5 vc0=0
_v_add_co_u32 v4, vcc, v0, s52                     // coord0.2: coord0 += d0*sg0*VW + vc0
v_cmp_lt_u32 s[52:53], v4, s[sgprSizeI]            // coord0 < size0
v_cmp_lt_u32 s[56:57], v1, s[sgprSizeJ]            // coord1 < size1
s_and_b64 s[56:57], s[52:53], s[56:57]             // in0 && in1
_v_add_lshl_u32 v97, v2, v4, 0x1                   // scaleToBpe: accumulate d0 lower and *= bpe into Cin addr
v_cndmask_b32 v97, -1, v97, s[56:57]               // LDC clip if OOB. offset
_buffer_load_d16_b16 v98, v97, s[sgprSrdC:sgprSrdC+3], 0, offen offset:0,  sc0 sc1 // load C for beta calc
_v_add_lshl_u32 v97, v3, v4, 0x1                   // scaleToBpe: accumulate d0 lower and *= bpe into Cin addr
v_cndmask_b32 v97, -1, v97, s[56:57]               // LDD clip if OOB. offset
/* (d1,vc1,d0,vc0)=(1,1,0,0) */
_v_add_co_u32 v1, vcc, v1, 1                       // coord1.1: coord1Vgpr += d1*sg1*VW + vc1

/* Fix for UseInitialStridesCD, emitAddressSetupCode */
_v_add_u32 v2, v2, s[sgprStrideC1J]                // ROWINC- Move cinRowPtr to next row
_v_add_u32 v3, v3, s[sgprStrideD1J]                // Move coutRowPtr to next row
v_cmp_lt_u32 s[52:53], v0, s[sgprSizeI]            // coord0 < size0
v_cmp_lt_u32 s[56:57], v1, s[sgprSizeJ]            // coord1 < size1
s_and_b64 s[56:57], s[52:53], s[56:57]             // in0 && in1
_v_add_lshl_u32 v100, v2, v0, 0x1                  // scaleToBpe: accumulate d0 lower and *= bpe into Cin addr
v_cndmask_b32 v100, -1, v100, s[56:57]             // LDC clip if OOB. offset
_buffer_load_d16_b16 v101, v100, s[sgprSrdC:sgprSrdC+3], 0, offen offset:0,  sc0 sc1 // load C for beta calc
_v_add_lshl_u32 v100, v3, v0, 0x1                  // scaleToBpe: accumulate d0 lower and *= bpe into Cin addr
v_cndmask_b32 v100, -1, v100, s[56:57]             // LDD clip if OOB. offset
/* (d1,vc1,d0,vc0)=(1,1,1,0) */
_v_add_co_u32 v4, vcc, v0, 32                      // coord0.1: coord0 += d0*sg0*VW + vc0
v_cmp_lt_u32 s[52:53], v4, s[sgprSizeI]            // coord0 < size0
v_cmp_lt_u32 s[56:57], v1, s[sgprSizeJ]            // coord1 < size1
s_and_b64 s[56:57], s[52:53], s[56:57]             // in0 && in1
_v_add_lshl_u32 v103, v2, v4, 0x1                  // scaleToBpe: accumulate d0 lower and *= bpe into Cin addr
v_cndmask_b32 v103, -1, v103, s[56:57]             // LDC clip if OOB. offset
_buffer_load_d16_b16 v104, v103, s[sgprSrdC:sgprSrdC+3], 0, offen offset:0,  sc0 sc1 // load C for beta calc
_v_add_lshl_u32 v103, v3, v4, 0x1                  // scaleToBpe: accumulate d0 lower and *= bpe into Cin addr
v_cndmask_b32 v103, -1, v103, s[56:57]             // LDD clip if OOB. offset
/* (d1,vc1,d0,vc0)=(1,1,2,0) */
_v_add_co_u32 v4, vcc, v0, 64                      // coord0.1: coord0 += d0*sg0*VW + vc0
v_cmp_lt_u32 s[52:53], v4, s[sgprSizeI]            // coord0 < size0
v_cmp_lt_u32 s[56:57], v1, s[sgprSizeJ]            // coord1 < size1
s_and_b64 s[56:57], s[52:53], s[56:57]             // in0 && in1
_v_add_lshl_u32 v106, v2, v4, 0x1                  // scaleToBpe: accumulate d0 lower and *= bpe into Cin addr
v_cndmask_b32 v106, -1, v106, s[56:57]             // LDC clip if OOB. offset
_buffer_load_d16_b16 v107, v106, s[sgprSrdC:sgprSrdC+3], 0, offen offset:0,  sc0 sc1 // load C for beta calc
_v_add_lshl_u32 v106, v3, v4, 0x1                  // scaleToBpe: accumulate d0 lower and *= bpe into Cin addr
v_cndmask_b32 v106, -1, v106, s[56:57]             // LDD clip if OOB. offset
/* (d1,vc1,d0,vc0)=(1,1,3,0) */
s_mov_b32 s52, 96                                  // coordOffset0 d0=3 vc0=0
_v_add_co_u32 v4, vcc, v0, s52                     // coord0.2: coord0 += d0*sg0*VW + vc0
v_cmp_lt_u32 s[52:53], v4, s[sgprSizeI]            // coord0 < size0
v_cmp_lt_u32 s[56:57], v1, s[sgprSizeJ]            // coord1 < size1
s_and_b64 s[56:57], s[52:53], s[56:57]             // in0 && in1
_v_add_lshl_u32 v109, v2, v4, 0x1                  // scaleToBpe: accumulate d0 lower and *= bpe into Cin addr
v_cndmask_b32 v109, -1, v109, s[56:57]             // LDC clip if OOB. offset
_buffer_load_d16_b16 v110, v109, s[sgprSrdC:sgprSrdC+3], 0, offen offset:0,  sc0 sc1 // load C for beta calc
_v_add_lshl_u32 v109, v3, v4, 0x1                  // scaleToBpe: accumulate d0 lower and *= bpe into Cin addr
v_cndmask_b32 v109, -1, v109, s[56:57]             // LDD clip if OOB. offset
/* (d1,vc1,d0,vc0)=(1,1,4,0) */
s_mov_b32 s52, 128                                 // coordOffset0 d0=4 vc0=0
_v_add_co_u32 v4, vcc, v0, s52                     // coord0.2: coord0 += d0*sg0*VW + vc0
v_cmp_lt_u32 s[52:53], v4, s[sgprSizeI]            // coord0 < size0
v_cmp_lt_u32 s[56:57], v1, s[sgprSizeJ]            // coord1 < size1
s_and_b64 s[56:57], s[52:53], s[56:57]             // in0 && in1
_v_add_lshl_u32 v112, v2, v4, 0x1                  // scaleToBpe: accumulate d0 lower and *= bpe into Cin addr
v_cndmask_b32 v112, -1, v112, s[56:57]             // LDC clip if OOB. offset
_buffer_load_d16_b16 v113, v112, s[sgprSrdC:sgprSrdC+3], 0, offen offset:0,  sc0 sc1 // load C for beta calc
_v_add_lshl_u32 v112, v3, v4, 0x1                  // scaleToBpe: accumulate d0 lower and *= bpe into Cin addr
v_cndmask_b32 v112, -1, v112, s[56:57]             // LDD clip if OOB. offset
/* (d1,vc1,d0,vc0)=(1,1,5,0) */
s_mov_b32 s52, 160                                 // coordOffset0 d0=5 vc0=0
_v_add_co_u32 v4, vcc, v0, s52                     // coord0.2: coord0 += d0*sg0*VW + vc0
v_cmp_lt_u32 s[52:53], v4, s[sgprSizeI]            // coord0 < size0
v_cmp_lt_u32 s[56:57], v1, s[sgprSizeJ]            // coord1 < size1
s_and_b64 s[56:57], s[52:53], s[56:57]             // in0 && in1
_v_add_lshl_u32 v115, v2, v4, 0x1                  // scaleToBpe: accumulate d0 lower and *= bpe into Cin addr
v_cndmask_b32 v115, -1, v115, s[56:57]             // LDC clip if OOB. offset
_buffer_load_d16_b16 v116, v115, s[sgprSrdC:sgprSrdC+3], 0, offen offset:0,  sc0 sc1 // load C for beta calc
_v_add_lshl_u32 v115, v3, v4, 0x1                  // scaleToBpe: accumulate d0 lower and *= bpe into Cin addr
v_cndmask_b32 v115, -1, v115, s[56:57]             // LDD clip if OOB. offset
/* (d1,vc1,d0,vc0)=(1,2,0,0) */
_v_add_co_u32 v1, vcc, v1, 1                       // coord1.1: coord1Vgpr += d1*sg1*VW + vc1

/* Fix for UseInitialStridesCD, emitAddressSetupCode */
_v_add_u32 v2, v2, s[sgprStrideC1J]                // ROWINC- Move cinRowPtr to next row
_v_add_u32 v3, v3, s[sgprStrideD1J]                // Move coutRowPtr to next row
v_cmp_lt_u32 s[52:53], v0, s[sgprSizeI]            // coord0 < size0
v_cmp_lt_u32 s[56:57], v1, s[sgprSizeJ]            // coord1 < size1
s_and_b64 s[56:57], s[52:53], s[56:57]             // in0 && in1
_v_add_lshl_u32 v118, v2, v0, 0x1                  // scaleToBpe: accumulate d0 lower and *= bpe into Cin addr
v_cndmask_b32 v118, -1, v118, s[56:57]             // LDC clip if OOB. offset
_buffer_load_d16_b16 v119, v118, s[sgprSrdC:sgprSrdC+3], 0, offen offset:0,  sc0 sc1 // load C for beta calc
_v_add_lshl_u32 v118, v3, v0, 0x1                  // scaleToBpe: accumulate d0 lower and *= bpe into Cin addr
v_cndmask_b32 v118, -1, v118, s[56:57]             // LDD clip if OOB. offset
/* (d1,vc1,d0,vc0)=(1,2,1,0) */
_v_add_co_u32 v4, vcc, v0, 32                      // coord0.1: coord0 += d0*sg0*VW + vc0
v_cmp_lt_u32 s[52:53], v4, s[sgprSizeI]            // coord0 < size0
v_cmp_lt_u32 s[56:57], v1, s[sgprSizeJ]            // coord1 < size1
s_and_b64 s[56:57], s[52:53], s[56:57]             // in0 && in1
_v_add_lshl_u32 v121, v2, v4, 0x1                  // scaleToBpe: accumulate d0 lower and *= bpe into Cin addr
v_cndmask_b32 v121, -1, v121, s[56:57]             // LDC clip if OOB. offset
_buffer_load_d16_b16 v122, v121, s[sgprSrdC:sgprSrdC+3], 0, offen offset:0,  sc0 sc1 // load C for beta calc
_v_add_lshl_u32 v121, v3, v4, 0x1                  // scaleToBpe: accumulate d0 lower and *= bpe into Cin addr
v_cndmask_b32 v121, -1, v121, s[56:57]             // LDD clip if OOB. offset
/* (d1,vc1,d0,vc0)=(1,2,2,0) */
_v_add_co_u32 v4, vcc, v0, 64                      // coord0.1: coord0 += d0*sg0*VW + vc0
v_cmp_lt_u32 s[52:53], v4, s[sgprSizeI]            // coord0 < size0
v_cmp_lt_u32 s[56:57], v1, s[sgprSizeJ]            // coord1 < size1
s_and_b64 s[56:57], s[52:53], s[56:57]             // in0 && in1
_v_add_lshl_u32 v124, v2, v4, 0x1                  // scaleToBpe: accumulate d0 lower and *= bpe into Cin addr
v_cndmask_b32 v124, -1, v124, s[56:57]             // LDC clip if OOB. offset
_buffer_load_d16_b16 v125, v124, s[sgprSrdC:sgprSrdC+3], 0, offen offset:0,  sc0 sc1 // load C for beta calc
_v_add_lshl_u32 v124, v3, v4, 0x1                  // scaleToBpe: accumulate d0 lower and *= bpe into Cin addr
v_cndmask_b32 v124, -1, v124, s[56:57]             // LDD clip if OOB. offset
/* (d1,vc1,d0,vc0)=(1,2,3,0) */
s_mov_b32 s52, 96                                  // coordOffset0 d0=3 vc0=0
_v_add_co_u32 v4, vcc, v0, s52                     // coord0.2: coord0 += d0*sg0*VW + vc0
v_cmp_lt_u32 s[52:53], v4, s[sgprSizeI]            // coord0 < size0
v_cmp_lt_u32 s[56:57], v1, s[sgprSizeJ]            // coord1 < size1
s_and_b64 s[56:57], s[52:53], s[56:57]             // in0 && in1
_v_add_lshl_u32 v127, v2, v4, 0x1                  // scaleToBpe: accumulate d0 lower and *= bpe into Cin addr
v_cndmask_b32 v127, -1, v127, s[56:57]             // LDC clip if OOB. offset
_buffer_load_d16_b16 v128, v127, s[sgprSrdC:sgprSrdC+3], 0, offen offset:0,  sc0 sc1 // load C for beta calc
_v_add_lshl_u32 v127, v3, v4, 0x1                  // scaleToBpe: accumulate d0 lower and *= bpe into Cin addr
v_cndmask_b32 v127, -1, v127, s[56:57]             // LDD clip if OOB. offset
/* (d1,vc1,d0,vc0)=(1,2,4,0) */
s_mov_b32 s52, 128                                 // coordOffset0 d0=4 vc0=0
_v_add_co_u32 v4, vcc, v0, s52                     // coord0.2: coord0 += d0*sg0*VW + vc0
v_cmp_lt_u32 s[52:53], v4, s[sgprSizeI]            // coord0 < size0
v_cmp_lt_u32 s[56:57], v1, s[sgprSizeJ]            // coord1 < size1
s_and_b64 s[56:57], s[52:53], s[56:57]             // in0 && in1
_v_add_lshl_u32 v130, v2, v4, 0x1                  // scaleToBpe: accumulate d0 lower and *= bpe into Cin addr
v_cndmask_b32 v130, -1, v130, s[56:57]             // LDC clip if OOB. offset
_buffer_load_d16_b16 v131, v130, s[sgprSrdC:sgprSrdC+3], 0, offen offset:0,  sc0 sc1 // load C for beta calc
_v_add_lshl_u32 v130, v3, v4, 0x1                  // scaleToBpe: accumulate d0 lower and *= bpe into Cin addr
v_cndmask_b32 v130, -1, v130, s[56:57]             // LDD clip if OOB. offset
/* (d1,vc1,d0,vc0)=(1,2,5,0) */
s_mov_b32 s52, 160                                 // coordOffset0 d0=5 vc0=0
_v_add_co_u32 v4, vcc, v0, s52                     // coord0.2: coord0 += d0*sg0*VW + vc0
v_cmp_lt_u32 s[52:53], v4, s[sgprSizeI]            // coord0 < size0
v_cmp_lt_u32 s[56:57], v1, s[sgprSizeJ]            // coord1 < size1
s_and_b64 s[56:57], s[52:53], s[56:57]             // in0 && in1
_v_add_lshl_u32 v133, v2, v4, 0x1                  // scaleToBpe: accumulate d0 lower and *= bpe into Cin addr
v_cndmask_b32 v133, -1, v133, s[56:57]             // LDC clip if OOB. offset
_buffer_load_d16_b16 v134, v133, s[sgprSrdC:sgprSrdC+3], 0, offen offset:0,  sc0 sc1 // load C for beta calc
_v_add_lshl_u32 v133, v3, v4, 0x1                  // scaleToBpe: accumulate d0 lower and *= bpe into Cin addr
v_cndmask_b32 v133, -1, v133, s[56:57]             // LDD clip if OOB. offset
/* (d1,vc1,d0,vc0)=(1,3,0,0) */
_v_add_co_u32 v1, vcc, v1, 1                       // coord1.1: coord1Vgpr += d1*sg1*VW + vc1

/* Fix for UseInitialStridesCD, emitAddressSetupCode */
_v_add_u32 v2, v2, s[sgprStrideC1J]                // ROWINC- Move cinRowPtr to next row
_v_add_u32 v3, v3, s[sgprStrideD1J]                // Move coutRowPtr to next row
v_cmp_lt_u32 s[52:53], v0, s[sgprSizeI]            // coord0 < size0
v_cmp_lt_u32 s[56:57], v1, s[sgprSizeJ]            // coord1 < size1
s_and_b64 s[56:57], s[52:53], s[56:57]             // in0 && in1
_v_add_lshl_u32 v136, v2, v0, 0x1                  // scaleToBpe: accumulate d0 lower and *= bpe into Cin addr
v_cndmask_b32 v136, -1, v136, s[56:57]             // LDC clip if OOB. offset
_buffer_load_d16_b16 v137, v136, s[sgprSrdC:sgprSrdC+3], 0, offen offset:0,  sc0 sc1 // load C for beta calc
_v_add_lshl_u32 v136, v3, v0, 0x1                  // scaleToBpe: accumulate d0 lower and *= bpe into Cin addr
v_cndmask_b32 v136, -1, v136, s[56:57]             // LDD clip if OOB. offset
/* (d1,vc1,d0,vc0)=(1,3,1,0) */
_v_add_co_u32 v4, vcc, v0, 32                      // coord0.1: coord0 += d0*sg0*VW + vc0
v_cmp_lt_u32 s[52:53], v4, s[sgprSizeI]            // coord0 < size0
v_cmp_lt_u32 s[56:57], v1, s[sgprSizeJ]            // coord1 < size1
s_and_b64 s[56:57], s[52:53], s[56:57]             // in0 && in1
_v_add_lshl_u32 v139, v2, v4, 0x1                  // scaleToBpe: accumulate d0 lower and *= bpe into Cin addr
v_cndmask_b32 v139, -1, v139, s[56:57]             // LDC clip if OOB. offset
_buffer_load_d16_b16 v140, v139, s[sgprSrdC:sgprSrdC+3], 0, offen offset:0,  sc0 sc1 // load C for beta calc
_v_add_lshl_u32 v139, v3, v4, 0x1                  // scaleToBpe: accumulate d0 lower and *= bpe into Cin addr
v_cndmask_b32 v139, -1, v139, s[56:57]             // LDD clip if OOB. offset
/* (d1,vc1,d0,vc0)=(1,3,2,0) */
_v_add_co_u32 v4, vcc, v0, 64                      // coord0.1: coord0 += d0*sg0*VW + vc0
v_cmp_lt_u32 s[52:53], v4, s[sgprSizeI]            // coord0 < size0
v_cmp_lt_u32 s[56:57], v1, s[sgprSizeJ]            // coord1 < size1
s_and_b64 s[56:57], s[52:53], s[56:57]             // in0 && in1
_v_add_lshl_u32 v142, v2, v4, 0x1                  // scaleToBpe: accumulate d0 lower and *= bpe into Cin addr
v_cndmask_b32 v142, -1, v142, s[56:57]             // LDC clip if OOB. offset
_buffer_load_d16_b16 v143, v142, s[sgprSrdC:sgprSrdC+3], 0, offen offset:0,  sc0 sc1 // load C for beta calc
_v_add_lshl_u32 v142, v3, v4, 0x1                  // scaleToBpe: accumulate d0 lower and *= bpe into Cin addr
v_cndmask_b32 v142, -1, v142, s[56:57]             // LDD clip if OOB. offset
/* (d1,vc1,d0,vc0)=(1,3,3,0) */
s_mov_b32 s52, 96                                  // coordOffset0 d0=3 vc0=0
_v_add_co_u32 v4, vcc, v0, s52                     // coord0.2: coord0 += d0*sg0*VW + vc0
v_cmp_lt_u32 s[52:53], v4, s[sgprSizeI]            // coord0 < size0
v_cmp_lt_u32 s[56:57], v1, s[sgprSizeJ]            // coord1 < size1
s_and_b64 s[56:57], s[52:53], s[56:57]             // in0 && in1
_v_add_lshl_u32 v145, v2, v4, 0x1                  // scaleToBpe: accumulate d0 lower and *= bpe into Cin addr
v_cndmask_b32 v145, -1, v145, s[56:57]             // LDC clip if OOB. offset
_buffer_load_d16_b16 v146, v145, s[sgprSrdC:sgprSrdC+3], 0, offen offset:0,  sc0 sc1 // load C for beta calc
_v_add_lshl_u32 v145, v3, v4, 0x1                  // scaleToBpe: accumulate d0 lower and *= bpe into Cin addr
v_cndmask_b32 v145, -1, v145, s[56:57]             // LDD clip if OOB. offset
/* (d1,vc1,d0,vc0)=(1,3,4,0) */
s_mov_b32 s52, 128                                 // coordOffset0 d0=4 vc0=0
_v_add_co_u32 v4, vcc, v0, s52                     // coord0.2: coord0 += d0*sg0*VW + vc0
v_cmp_lt_u32 s[52:53], v4, s[sgprSizeI]            // coord0 < size0
v_cmp_lt_u32 s[56:57], v1, s[sgprSizeJ]            // coord1 < size1
s_and_b64 s[56:57], s[52:53], s[56:57]             // in0 && in1
_v_add_lshl_u32 v148, v2, v4, 0x1                  // scaleToBpe: accumulate d0 lower and *= bpe into Cin addr
v_cndmask_b32 v148, -1, v148, s[56:57]             // LDC clip if OOB. offset
_buffer_load_d16_b16 v149, v148, s[sgprSrdC:sgprSrdC+3], 0, offen offset:0,  sc0 sc1 // load C for beta calc
_v_add_lshl_u32 v148, v3, v4, 0x1                  // scaleToBpe: accumulate d0 lower and *= bpe into Cin addr
v_cndmask_b32 v148, -1, v148, s[56:57]             // LDD clip if OOB. offset
/* (d1,vc1,d0,vc0)=(1,3,5,0) */
s_mov_b32 s52, 160                                 // coordOffset0 d0=5 vc0=0
_v_add_co_u32 v4, vcc, v0, s52                     // coord0.2: coord0 += d0*sg0*VW + vc0
v_cmp_lt_u32 s[52:53], v4, s[sgprSizeI]            // coord0 < size0
v_cmp_lt_u32 s[56:57], v1, s[sgprSizeJ]            // coord1 < size1
s_and_b64 s[56:57], s[52:53], s[56:57]             // in0 && in1
_v_add_lshl_u32 v151, v2, v4, 0x1                  // scaleToBpe: accumulate d0 lower and *= bpe into Cin addr
v_cndmask_b32 v151, -1, v151, s[56:57]             // LDC clip if OOB. offset
_buffer_load_d16_b16 v152, v151, s[sgprSrdC:sgprSrdC+3], 0, offen offset:0,  sc0 sc1 // load C for beta calc
_v_add_lshl_u32 v151, v3, v4, 0x1                  // scaleToBpe: accumulate d0 lower and *= bpe into Cin addr
v_cndmask_b32 v151, -1, v151, s[56:57]             // LDD clip if OOB. offset
/* (d1,vc1,d0,vc0)=(2,0,0,0) */
_v_add_co_u32 v1, vcc, v1, 29                      // coord1.1: coord1Vgpr += d1*sg1*VW + vc1

/* Fix for UseInitialStridesCD, emitAddressSetupCode */
s_mul_i32 s52, s[sgprStrideC1J], 29                // scale stride
_v_add_u32 v2, v2, s52                             // ROWINC- Move cinRowPtr to next row
s_mul_i32 s52, s[sgprStrideD1J], 29                // scale stride
_v_add_u32 v3, v3, s52                             // Move coutRowPtr to next row
v_cmp_lt_u32 s[52:53], v0, s[sgprSizeI]            // coord0 < size0
v_cmp_lt_u32 s[56:57], v1, s[sgprSizeJ]            // coord1 < size1
s_and_b64 s[56:57], s[52:53], s[56:57]             // in0 && in1
_v_add_lshl_u32 v154, v2, v0, 0x1                  // scaleToBpe: accumulate d0 lower and *= bpe into Cin addr
v_cndmask_b32 v154, -1, v154, s[56:57]             // LDC clip if OOB. offset
_buffer_load_d16_b16 v155, v154, s[sgprSrdC:sgprSrdC+3], 0, offen offset:0,  sc0 sc1 // load C for beta calc
_v_add_lshl_u32 v154, v3, v0, 0x1                  // scaleToBpe: accumulate d0 lower and *= bpe into Cin addr
v_cndmask_b32 v154, -1, v154, s[56:57]             // LDD clip if OOB. offset
/* (d1,vc1,d0,vc0)=(2,0,1,0) */
_v_add_co_u32 v4, vcc, v0, 32                      // coord0.1: coord0 += d0*sg0*VW + vc0
v_cmp_lt_u32 s[52:53], v4, s[sgprSizeI]            // coord0 < size0
v_cmp_lt_u32 s[56:57], v1, s[sgprSizeJ]            // coord1 < size1
s_and_b64 s[56:57], s[52:53], s[56:57]             // in0 && in1
_v_add_lshl_u32 v157, v2, v4, 0x1                  // scaleToBpe: accumulate d0 lower and *= bpe into Cin addr
v_cndmask_b32 v157, -1, v157, s[56:57]             // LDC clip if OOB. offset
_buffer_load_d16_b16 v158, v157, s[sgprSrdC:sgprSrdC+3], 0, offen offset:0,  sc0 sc1 // load C for beta calc
_v_add_lshl_u32 v157, v3, v4, 0x1                  // scaleToBpe: accumulate d0 lower and *= bpe into Cin addr
v_cndmask_b32 v157, -1, v157, s[56:57]             // LDD clip if OOB. offset
/* (d1,vc1,d0,vc0)=(2,0,2,0) */
_v_add_co_u32 v4, vcc, v0, 64                      // coord0.1: coord0 += d0*sg0*VW + vc0
v_cmp_lt_u32 s[52:53], v4, s[sgprSizeI]            // coord0 < size0
v_cmp_lt_u32 s[56:57], v1, s[sgprSizeJ]            // coord1 < size1
s_and_b64 s[56:57], s[52:53], s[56:57]             // in0 && in1
_v_add_lshl_u32 v160, v2, v4, 0x1                  // scaleToBpe: accumulate d0 lower and *= bpe into Cin addr
v_cndmask_b32 v160, -1, v160, s[56:57]             // LDC clip if OOB. offset
_buffer_load_d16_b16 v161, v160, s[sgprSrdC:sgprSrdC+3], 0, offen offset:0,  sc0 sc1 // load C for beta calc
_v_add_lshl_u32 v160, v3, v4, 0x1                  // scaleToBpe: accumulate d0 lower and *= bpe into Cin addr
v_cndmask_b32 v160, -1, v160, s[56:57]             // LDD clip if OOB. offset
/* (d1,vc1,d0,vc0)=(2,0,3,0) */
s_mov_b32 s52, 96                                  // coordOffset0 d0=3 vc0=0
_v_add_co_u32 v4, vcc, v0, s52                     // coord0.2: coord0 += d0*sg0*VW + vc0
v_cmp_lt_u32 s[52:53], v4, s[sgprSizeI]            // coord0 < size0
v_cmp_lt_u32 s[56:57], v1, s[sgprSizeJ]            // coord1 < size1
s_and_b64 s[56:57], s[52:53], s[56:57]             // in0 && in1
_v_add_lshl_u32 v163, v2, v4, 0x1                  // scaleToBpe: accumulate d0 lower and *= bpe into Cin addr
v_cndmask_b32 v163, -1, v163, s[56:57]             // LDC clip if OOB. offset
_buffer_load_d16_b16 v164, v163, s[sgprSrdC:sgprSrdC+3], 0, offen offset:0,  sc0 sc1 // load C for beta calc
_v_add_lshl_u32 v163, v3, v4, 0x1                  // scaleToBpe: accumulate d0 lower and *= bpe into Cin addr
v_cndmask_b32 v163, -1, v163, s[56:57]             // LDD clip if OOB. offset
/* (d1,vc1,d0,vc0)=(2,0,4,0) */
s_mov_b32 s52, 128                                 // coordOffset0 d0=4 vc0=0
_v_add_co_u32 v4, vcc, v0, s52                     // coord0.2: coord0 += d0*sg0*VW + vc0
v_cmp_lt_u32 s[52:53], v4, s[sgprSizeI]            // coord0 < size0
v_cmp_lt_u32 s[56:57], v1, s[sgprSizeJ]            // coord1 < size1
s_and_b64 s[56:57], s[52:53], s[56:57]             // in0 && in1
_v_add_lshl_u32 v166, v2, v4, 0x1                  // scaleToBpe: accumulate d0 lower and *= bpe into Cin addr
v_cndmask_b32 v166, -1, v166, s[56:57]             // LDC clip if OOB. offset
_buffer_load_d16_b16 v167, v166, s[sgprSrdC:sgprSrdC+3], 0, offen offset:0,  sc0 sc1 // load C for beta calc
_v_add_lshl_u32 v166, v3, v4, 0x1                  // scaleToBpe: accumulate d0 lower and *= bpe into Cin addr
v_cndmask_b32 v166, -1, v166, s[56:57]             // LDD clip if OOB. offset
/* (d1,vc1,d0,vc0)=(2,0,5,0) */
s_mov_b32 s52, 160                                 // coordOffset0 d0=5 vc0=0
_v_add_co_u32 v4, vcc, v0, s52                     // coord0.2: coord0 += d0*sg0*VW + vc0
v_cmp_lt_u32 s[52:53], v4, s[sgprSizeI]            // coord0 < size0
v_cmp_lt_u32 s[56:57], v1, s[sgprSizeJ]            // coord1 < size1
s_and_b64 s[56:57], s[52:53], s[56:57]             // in0 && in1
_v_add_lshl_u32 v169, v2, v4, 0x1                  // scaleToBpe: accumulate d0 lower and *= bpe into Cin addr
v_cndmask_b32 v169, -1, v169, s[56:57]             // LDC clip if OOB. offset
_buffer_load_d16_b16 v170, v169, s[sgprSrdC:sgprSrdC+3], 0, offen offset:0,  sc0 sc1 // load C for beta calc
_v_add_lshl_u32 v169, v3, v4, 0x1                  // scaleToBpe: accumulate d0 lower and *= bpe into Cin addr
v_cndmask_b32 v169, -1, v169, s[56:57]             // LDD clip if OOB. offset
/* (d1,vc1,d0,vc0)=(2,1,0,0) */
_v_add_co_u32 v1, vcc, v1, 1                       // coord1.1: coord1Vgpr += d1*sg1*VW + vc1

/* Fix for UseInitialStridesCD, emitAddressSetupCode */
_v_add_u32 v2, v2, s[sgprStrideC1J]                // ROWINC- Move cinRowPtr to next row
_v_add_u32 v3, v3, s[sgprStrideD1J]                // Move coutRowPtr to next row
v_cmp_lt_u32 s[52:53], v0, s[sgprSizeI]            // coord0 < size0
v_cmp_lt_u32 s[56:57], v1, s[sgprSizeJ]            // coord1 < size1
s_and_b64 s[56:57], s[52:53], s[56:57]             // in0 && in1
_v_add_lshl_u32 v175, v2, v0, 0x1                  // scaleToBpe: accumulate d0 lower and *= bpe into Cin addr
v_cndmask_b32 v175, -1, v175, s[56:57]             // LDC clip if OOB. offset
_buffer_load_d16_b16 v176, v175, s[sgprSrdC:sgprSrdC+3], 0, offen offset:0,  sc0 sc1 // load C for beta calc
_v_add_lshl_u32 v175, v3, v0, 0x1                  // scaleToBpe: accumulate d0 lower and *= bpe into Cin addr
v_cndmask_b32 v175, -1, v175, s[56:57]             // LDD clip if OOB. offset
/* (d1,vc1,d0,vc0)=(2,1,1,0) */
_v_add_co_u32 v4, vcc, v0, 32                      // coord0.1: coord0 += d0*sg0*VW + vc0
v_cmp_lt_u32 s[52:53], v4, s[sgprSizeI]            // coord0 < size0
v_cmp_lt_u32 s[56:57], v1, s[sgprSizeJ]            // coord1 < size1
s_and_b64 s[56:57], s[52:53], s[56:57]             // in0 && in1
_v_add_lshl_u32 v178, v2, v4, 0x1                  // scaleToBpe: accumulate d0 lower and *= bpe into Cin addr
v_cndmask_b32 v178, -1, v178, s[56:57]             // LDC clip if OOB. offset
_buffer_load_d16_b16 v179, v178, s[sgprSrdC:sgprSrdC+3], 0, offen offset:0,  sc0 sc1 // load C for beta calc
_v_add_lshl_u32 v178, v3, v4, 0x1                  // scaleToBpe: accumulate d0 lower and *= bpe into Cin addr
v_cndmask_b32 v178, -1, v178, s[56:57]             // LDD clip if OOB. offset
/* (d1,vc1,d0,vc0)=(2,1,2,0) */
_v_add_co_u32 v4, vcc, v0, 64                      // coord0.1: coord0 += d0*sg0*VW + vc0
v_cmp_lt_u32 s[52:53], v4, s[sgprSizeI]            // coord0 < size0
v_cmp_lt_u32 s[56:57], v1, s[sgprSizeJ]            // coord1 < size1
s_and_b64 s[56:57], s[52:53], s[56:57]             // in0 && in1
_v_add_lshl_u32 v181, v2, v4, 0x1                  // scaleToBpe: accumulate d0 lower and *= bpe into Cin addr
v_cndmask_b32 v181, -1, v181, s[56:57]             // LDC clip if OOB. offset
_buffer_load_d16_b16 v182, v181, s[sgprSrdC:sgprSrdC+3], 0, offen offset:0,  sc0 sc1 // load C for beta calc
_v_add_lshl_u32 v181, v3, v4, 0x1                  // scaleToBpe: accumulate d0 lower and *= bpe into Cin addr
v_cndmask_b32 v181, -1, v181, s[56:57]             // LDD clip if OOB. offset
/* (d1,vc1,d0,vc0)=(2,1,3,0) */
s_mov_b32 s52, 96                                  // coordOffset0 d0=3 vc0=0
_v_add_co_u32 v4, vcc, v0, s52                     // coord0.2: coord0 += d0*sg0*VW + vc0
v_cmp_lt_u32 s[52:53], v4, s[sgprSizeI]            // coord0 < size0
v_cmp_lt_u32 s[56:57], v1, s[sgprSizeJ]            // coord1 < size1
s_and_b64 s[56:57], s[52:53], s[56:57]             // in0 && in1
_v_add_lshl_u32 v184, v2, v4, 0x1                  // scaleToBpe: accumulate d0 lower and *= bpe into Cin addr
v_cndmask_b32 v184, -1, v184, s[56:57]             // LDC clip if OOB. offset
_buffer_load_d16_b16 v185, v184, s[sgprSrdC:sgprSrdC+3], 0, offen offset:0,  sc0 sc1 // load C for beta calc
_v_add_lshl_u32 v184, v3, v4, 0x1                  // scaleToBpe: accumulate d0 lower and *= bpe into Cin addr
v_cndmask_b32 v184, -1, v184, s[56:57]             // LDD clip if OOB. offset
/* (d1,vc1,d0,vc0)=(2,1,4,0) */
s_mov_b32 s52, 128                                 // coordOffset0 d0=4 vc0=0
_v_add_co_u32 v4, vcc, v0, s52                     // coord0.2: coord0 += d0*sg0*VW + vc0
v_cmp_lt_u32 s[52:53], v4, s[sgprSizeI]            // coord0 < size0
v_cmp_lt_u32 s[56:57], v1, s[sgprSizeJ]            // coord1 < size1
s_and_b64 s[56:57], s[52:53], s[56:57]             // in0 && in1
_v_add_lshl_u32 v187, v2, v4, 0x1                  // scaleToBpe: accumulate d0 lower and *= bpe into Cin addr
v_cndmask_b32 v187, -1, v187, s[56:57]             // LDC clip if OOB. offset
_buffer_load_d16_b16 v188, v187, s[sgprSrdC:sgprSrdC+3], 0, offen offset:0,  sc0 sc1 // load C for beta calc
_v_add_lshl_u32 v187, v3, v4, 0x1                  // scaleToBpe: accumulate d0 lower and *= bpe into Cin addr
v_cndmask_b32 v187, -1, v187, s[56:57]             // LDD clip if OOB. offset
/* (d1,vc1,d0,vc0)=(2,1,5,0) */
s_mov_b32 s52, 160                                 // coordOffset0 d0=5 vc0=0
_v_add_co_u32 v4, vcc, v0, s52                     // coord0.2: coord0 += d0*sg0*VW + vc0
v_cmp_lt_u32 s[52:53], v4, s[sgprSizeI]            // coord0 < size0
v_cmp_lt_u32 s[56:57], v1, s[sgprSizeJ]            // coord1 < size1
s_and_b64 s[56:57], s[52:53], s[56:57]             // in0 && in1
_v_add_lshl_u32 v190, v2, v4, 0x1                  // scaleToBpe: accumulate d0 lower and *= bpe into Cin addr
v_cndmask_b32 v190, -1, v190, s[56:57]             // LDC clip if OOB. offset
_buffer_load_d16_b16 v191, v190, s[sgprSrdC:sgprSrdC+3], 0, offen offset:0,  sc0 sc1 // load C for beta calc
_v_add_lshl_u32 v190, v3, v4, 0x1                  // scaleToBpe: accumulate d0 lower and *= bpe into Cin addr
v_cndmask_b32 v190, -1, v190, s[56:57]             // LDD clip if OOB. offset
/* (d1,vc1,d0,vc0)=(2,2,0,0) */
_v_add_co_u32 v1, vcc, v1, 1                       // coord1.1: coord1Vgpr += d1*sg1*VW + vc1

/* Fix for UseInitialStridesCD, emitAddressSetupCode */
_v_add_u32 v2, v2, s[sgprStrideC1J]                // ROWINC- Move cinRowPtr to next row
_v_add_u32 v3, v3, s[sgprStrideD1J]                // Move coutRowPtr to next row
v_cmp_lt_u32 s[52:53], v0, s[sgprSizeI]            // coord0 < size0
v_cmp_lt_u32 s[56:57], v1, s[sgprSizeJ]            // coord1 < size1
s_and_b64 s[56:57], s[52:53], s[56:57]             // in0 && in1
_v_add_lshl_u32 v193, v2, v0, 0x1                  // scaleToBpe: accumulate d0 lower and *= bpe into Cin addr
v_cndmask_b32 v193, -1, v193, s[56:57]             // LDC clip if OOB. offset
_buffer_load_d16_b16 v194, v193, s[sgprSrdC:sgprSrdC+3], 0, offen offset:0,  sc0 sc1 // load C for beta calc
_v_add_lshl_u32 v193, v3, v0, 0x1                  // scaleToBpe: accumulate d0 lower and *= bpe into Cin addr
v_cndmask_b32 v193, -1, v193, s[56:57]             // LDD clip if OOB. offset
/* (d1,vc1,d0,vc0)=(2,2,1,0) */
_v_add_co_u32 v4, vcc, v0, 32                      // coord0.1: coord0 += d0*sg0*VW + vc0
v_cmp_lt_u32 s[52:53], v4, s[sgprSizeI]            // coord0 < size0
v_cmp_lt_u32 s[56:57], v1, s[sgprSizeJ]            // coord1 < size1
s_and_b64 s[56:57], s[52:53], s[56:57]             // in0 && in1
_v_add_lshl_u32 v196, v2, v4, 0x1                  // scaleToBpe: accumulate d0 lower and *= bpe into Cin addr
v_cndmask_b32 v196, -1, v196, s[56:57]             // LDC clip if OOB. offset
_buffer_load_d16_b16 v197, v196, s[sgprSrdC:sgprSrdC+3], 0, offen offset:0,  sc0 sc1 // load C for beta calc
_v_add_lshl_u32 v196, v3, v4, 0x1                  // scaleToBpe: accumulate d0 lower and *= bpe into Cin addr
v_cndmask_b32 v196, -1, v196, s[56:57]             // LDD clip if OOB. offset
/* (d1,vc1,d0,vc0)=(2,2,2,0) */
_v_add_co_u32 v4, vcc, v0, 64                      // coord0.1: coord0 += d0*sg0*VW + vc0
v_cmp_lt_u32 s[52:53], v4, s[sgprSizeI]            // coord0 < size0
v_cmp_lt_u32 s[56:57], v1, s[sgprSizeJ]            // coord1 < size1
s_and_b64 s[56:57], s[52:53], s[56:57]             // in0 && in1
_v_add_lshl_u32 v199, v2, v4, 0x1                  // scaleToBpe: accumulate d0 lower and *= bpe into Cin addr
v_cndmask_b32 v199, -1, v199, s[56:57]             // LDC clip if OOB. offset
_buffer_load_d16_b16 v200, v199, s[sgprSrdC:sgprSrdC+3], 0, offen offset:0,  sc0 sc1 // load C for beta calc
_v_add_lshl_u32 v199, v3, v4, 0x1                  // scaleToBpe: accumulate d0 lower and *= bpe into Cin addr
v_cndmask_b32 v199, -1, v199, s[56:57]             // LDD clip if OOB. offset
/* (d1,vc1,d0,vc0)=(2,2,3,0) */
s_mov_b32 s52, 96                                  // coordOffset0 d0=3 vc0=0
_v_add_co_u32 v4, vcc, v0, s52                     // coord0.2: coord0 += d0*sg0*VW + vc0
v_cmp_lt_u32 s[52:53], v4, s[sgprSizeI]            // coord0 < size0
v_cmp_lt_u32 s[56:57], v1, s[sgprSizeJ]            // coord1 < size1
s_and_b64 s[56:57], s[52:53], s[56:57]             // in0 && in1
_v_add_lshl_u32 v202, v2, v4, 0x1                  // scaleToBpe: accumulate d0 lower and *= bpe into Cin addr
v_cndmask_b32 v202, -1, v202, s[56:57]             // LDC clip if OOB. offset
_buffer_load_d16_b16 v203, v202, s[sgprSrdC:sgprSrdC+3], 0, offen offset:0,  sc0 sc1 // load C for beta calc
_v_add_lshl_u32 v202, v3, v4, 0x1                  // scaleToBpe: accumulate d0 lower and *= bpe into Cin addr
v_cndmask_b32 v202, -1, v202, s[56:57]             // LDD clip if OOB. offset
/* (d1,vc1,d0,vc0)=(2,2,4,0) */
s_mov_b32 s52, 128                                 // coordOffset0 d0=4 vc0=0
_v_add_co_u32 v4, vcc, v0, s52                     // coord0.2: coord0 += d0*sg0*VW + vc0
v_cmp_lt_u32 s[52:53], v4, s[sgprSizeI]            // coord0 < size0
v_cmp_lt_u32 s[56:57], v1, s[sgprSizeJ]            // coord1 < size1
s_and_b64 s[56:57], s[52:53], s[56:57]             // in0 && in1
_v_add_lshl_u32 v205, v2, v4, 0x1                  // scaleToBpe: accumulate d0 lower and *= bpe into Cin addr
v_cndmask_b32 v205, -1, v205, s[56:57]             // LDC clip if OOB. offset
_buffer_load_d16_b16 v206, v205, s[sgprSrdC:sgprSrdC+3], 0, offen offset:0,  sc0 sc1 // load C for beta calc
_v_add_lshl_u32 v205, v3, v4, 0x1                  // scaleToBpe: accumulate d0 lower and *= bpe into Cin addr
v_cndmask_b32 v205, -1, v205, s[56:57]             // LDD clip if OOB. offset
/* (d1,vc1,d0,vc0)=(2,2,5,0) */
s_mov_b32 s52, 160                                 // coordOffset0 d0=5 vc0=0
_v_add_co_u32 v4, vcc, v0, s52                     // coord0.2: coord0 += d0*sg0*VW + vc0
v_cmp_lt_u32 s[52:53], v4, s[sgprSizeI]            // coord0 < size0
v_cmp_lt_u32 s[56:57], v1, s[sgprSizeJ]            // coord1 < size1
s_and_b64 s[56:57], s[52:53], s[56:57]             // in0 && in1
_v_add_lshl_u32 v208, v2, v4, 0x1                  // scaleToBpe: accumulate d0 lower and *= bpe into Cin addr
v_cndmask_b32 v208, -1, v208, s[56:57]             // LDC clip if OOB. offset
_buffer_load_d16_b16 v209, v208, s[sgprSrdC:sgprSrdC+3], 0, offen offset:0,  sc0 sc1 // load C for beta calc
_v_add_lshl_u32 v208, v3, v4, 0x1                  // scaleToBpe: accumulate d0 lower and *= bpe into Cin addr
v_cndmask_b32 v208, -1, v208, s[56:57]             // LDD clip if OOB. offset
/* (d1,vc1,d0,vc0)=(2,3,0,0) */
_v_add_co_u32 v1, vcc, v1, 1                       // coord1.1: coord1Vgpr += d1*sg1*VW + vc1

/* Fix for UseInitialStridesCD, emitAddressSetupCode */
_v_add_u32 v2, v2, s[sgprStrideC1J]                // ROWINC- Move cinRowPtr to next row
_v_add_u32 v3, v3, s[sgprStrideD1J]                // Move coutRowPtr to next row
v_cmp_lt_u32 s[52:53], v0, s[sgprSizeI]            // coord0 < size0
v_cmp_lt_u32 s[56:57], v1, s[sgprSizeJ]            // coord1 < size1
s_and_b64 s[56:57], s[52:53], s[56:57]             // in0 && in1
_v_add_lshl_u32 v211, v2, v0, 0x1                  // scaleToBpe: accumulate d0 lower and *= bpe into Cin addr
v_cndmask_b32 v211, -1, v211, s[56:57]             // LDC clip if OOB. offset
_buffer_load_d16_b16 v212, v211, s[sgprSrdC:sgprSrdC+3], 0, offen offset:0,  sc0 sc1 // load C for beta calc
_v_add_lshl_u32 v211, v3, v0, 0x1                  // scaleToBpe: accumulate d0 lower and *= bpe into Cin addr
v_cndmask_b32 v211, -1, v211, s[56:57]             // LDD clip if OOB. offset
/* (d1,vc1,d0,vc0)=(2,3,1,0) */
_v_add_co_u32 v4, vcc, v0, 32                      // coord0.1: coord0 += d0*sg0*VW + vc0
v_cmp_lt_u32 s[52:53], v4, s[sgprSizeI]            // coord0 < size0
v_cmp_lt_u32 s[56:57], v1, s[sgprSizeJ]            // coord1 < size1
s_and_b64 s[56:57], s[52:53], s[56:57]             // in0 && in1
_v_add_lshl_u32 v214, v2, v4, 0x1                  // scaleToBpe: accumulate d0 lower and *= bpe into Cin addr
v_cndmask_b32 v214, -1, v214, s[56:57]             // LDC clip if OOB. offset
_buffer_load_d16_b16 v215, v214, s[sgprSrdC:sgprSrdC+3], 0, offen offset:0,  sc0 sc1 // load C for beta calc
_v_add_lshl_u32 v214, v3, v4, 0x1                  // scaleToBpe: accumulate d0 lower and *= bpe into Cin addr
v_cndmask_b32 v214, -1, v214, s[56:57]             // LDD clip if OOB. offset
/* (d1,vc1,d0,vc0)=(2,3,2,0) */
_v_add_co_u32 v4, vcc, v0, 64                      // coord0.1: coord0 += d0*sg0*VW + vc0
v_cmp_lt_u32 s[52:53], v4, s[sgprSizeI]            // coord0 < size0
v_cmp_lt_u32 s[56:57], v1, s[sgprSizeJ]            // coord1 < size1
s_and_b64 s[56:57], s[52:53], s[56:57]             // in0 && in1
_v_add_lshl_u32 v217, v2, v4, 0x1                  // scaleToBpe: accumulate d0 lower and *= bpe into Cin addr
v_cndmask_b32 v217, -1, v217, s[56:57]             // LDC clip if OOB. offset
_buffer_load_d16_b16 v218, v217, s[sgprSrdC:sgprSrdC+3], 0, offen offset:0,  sc0 sc1 // load C for beta calc
_v_add_lshl_u32 v217, v3, v4, 0x1                  // scaleToBpe: accumulate d0 lower and *= bpe into Cin addr
v_cndmask_b32 v217, -1, v217, s[56:57]             // LDD clip if OOB. offset
/* (d1,vc1,d0,vc0)=(2,3,3,0) */
s_mov_b32 s52, 96                                  // coordOffset0 d0=3 vc0=0
_v_add_co_u32 v4, vcc, v0, s52                     // coord0.2: coord0 += d0*sg0*VW + vc0
v_cmp_lt_u32 s[52:53], v4, s[sgprSizeI]            // coord0 < size0
v_cmp_lt_u32 s[56:57], v1, s[sgprSizeJ]            // coord1 < size1
s_and_b64 s[56:57], s[52:53], s[56:57]             // in0 && in1
_v_add_lshl_u32 v220, v2, v4, 0x1                  // scaleToBpe: accumulate d0 lower and *= bpe into Cin addr
v_cndmask_b32 v220, -1, v220, s[56:57]             // LDC clip if OOB. offset
_buffer_load_d16_b16 v221, v220, s[sgprSrdC:sgprSrdC+3], 0, offen offset:0,  sc0 sc1 // load C for beta calc
_v_add_lshl_u32 v220, v3, v4, 0x1                  // scaleToBpe: accumulate d0 lower and *= bpe into Cin addr
v_cndmask_b32 v220, -1, v220, s[56:57]             // LDD clip if OOB. offset
/* (d1,vc1,d0,vc0)=(2,3,4,0) */
s_mov_b32 s52, 128                                 // coordOffset0 d0=4 vc0=0
_v_add_co_u32 v4, vcc, v0, s52                     // coord0.2: coord0 += d0*sg0*VW + vc0
v_cmp_lt_u32 s[52:53], v4, s[sgprSizeI]            // coord0 < size0
v_cmp_lt_u32 s[56:57], v1, s[sgprSizeJ]            // coord1 < size1
s_and_b64 s[56:57], s[52:53], s[56:57]             // in0 && in1
_v_add_lshl_u32 v223, v2, v4, 0x1                  // scaleToBpe: accumulate d0 lower and *= bpe into Cin addr
v_cndmask_b32 v223, -1, v223, s[56:57]             // LDC clip if OOB. offset
_buffer_load_d16_b16 v224, v223, s[sgprSrdC:sgprSrdC+3], 0, offen offset:0,  sc0 sc1 // load C for beta calc
_v_add_lshl_u32 v223, v3, v4, 0x1                  // scaleToBpe: accumulate d0 lower and *= bpe into Cin addr
v_cndmask_b32 v223, -1, v223, s[56:57]             // LDD clip if OOB. offset
/* (d1,vc1,d0,vc0)=(2,3,5,0) */
s_mov_b32 s52, 160                                 // coordOffset0 d0=5 vc0=0
_v_add_co_u32 v4, vcc, v0, s52                     // coord0.2: coord0 += d0*sg0*VW + vc0
v_cmp_lt_u32 s[52:53], v4, s[sgprSizeI]            // coord0 < size0
v_cmp_lt_u32 s[56:57], v1, s[sgprSizeJ]            // coord1 < size1
s_and_b64 s[56:57], s[52:53], s[56:57]             // in0 && in1
_v_add_lshl_u32 v226, v2, v4, 0x1                  // scaleToBpe: accumulate d0 lower and *= bpe into Cin addr
v_cndmask_b32 v226, -1, v226, s[56:57]             // LDC clip if OOB. offset
_buffer_load_d16_b16 v227, v226, s[sgprSrdC:sgprSrdC+3], 0, offen offset:0,  sc0 sc1 // load C for beta calc
_v_add_lshl_u32 v226, v3, v4, 0x1                  // scaleToBpe: accumulate d0 lower and *= bpe into Cin addr
v_cndmask_b32 v226, -1, v226, s[56:57]             // LDD clip if OOB. offset
/* (d1,vc1,d0,vc0)=(3,0,0,0) */
_v_add_co_u32 v1, vcc, v1, 29                      // coord1.1: coord1Vgpr += d1*sg1*VW + vc1

/* Fix for UseInitialStridesCD, emitAddressSetupCode */
s_mul_i32 s52, s[sgprStrideC1J], 29                // scale stride
_v_add_u32 v2, v2, s52                             // ROWINC- Move cinRowPtr to next row
s_mul_i32 s52, s[sgprStrideD1J], 29                // scale stride
_v_add_u32 v3, v3, s52                             // Move coutRowPtr to next row
v_cmp_lt_u32 s[52:53], v0, s[sgprSizeI]            // coord0 < size0
v_cmp_lt_u32 s[56:57], v1, s[sgprSizeJ]            // coord1 < size1
s_and_b64 s[56:57], s[52:53], s[56:57]             // in0 && in1
_v_add_lshl_u32 v229, v2, v0, 0x1                  // scaleToBpe: accumulate d0 lower and *= bpe into Cin addr
v_cndmask_b32 v229, -1, v229, s[56:57]             // LDC clip if OOB. offset
_buffer_load_d16_b16 v230, v229, s[sgprSrdC:sgprSrdC+3], 0, offen offset:0,  sc0 sc1 // load C for beta calc
_v_add_lshl_u32 v229, v3, v0, 0x1                  // scaleToBpe: accumulate d0 lower and *= bpe into Cin addr
v_cndmask_b32 v229, -1, v229, s[56:57]             // LDD clip if OOB. offset
/* (d1,vc1,d0,vc0)=(3,0,1,0) */
_v_add_co_u32 v4, vcc, v0, 32                      // coord0.1: coord0 += d0*sg0*VW + vc0
v_cmp_lt_u32 s[52:53], v4, s[sgprSizeI]            // coord0 < size0
v_cmp_lt_u32 s[56:57], v1, s[sgprSizeJ]            // coord1 < size1
s_and_b64 s[56:57], s[52:53], s[56:57]             // in0 && in1
_v_add_lshl_u32 v232, v2, v4, 0x1                  // scaleToBpe: accumulate d0 lower and *= bpe into Cin addr
v_cndmask_b32 v232, -1, v232, s[56:57]             // LDC clip if OOB. offset
_buffer_load_d16_b16 v233, v232, s[sgprSrdC:sgprSrdC+3], 0, offen offset:0,  sc0 sc1 // load C for beta calc
_v_add_lshl_u32 v232, v3, v4, 0x1                  // scaleToBpe: accumulate d0 lower and *= bpe into Cin addr
v_cndmask_b32 v232, -1, v232, s[56:57]             // LDD clip if OOB. offset
/* (d1,vc1,d0,vc0)=(3,0,2,0) */
_v_add_co_u32 v4, vcc, v0, 64                      // coord0.1: coord0 += d0*sg0*VW + vc0
v_cmp_lt_u32 s[52:53], v4, s[sgprSizeI]            // coord0 < size0
v_cmp_lt_u32 s[56:57], v1, s[sgprSizeJ]            // coord1 < size1
s_and_b64 s[56:57], s[52:53], s[56:57]             // in0 && in1
_v_add_lshl_u32 v235, v2, v4, 0x1                  // scaleToBpe: accumulate d0 lower and *= bpe into Cin addr
v_cndmask_b32 v235, -1, v235, s[56:57]             // LDC clip if OOB. offset
_buffer_load_d16_b16 v236, v235, s[sgprSrdC:sgprSrdC+3], 0, offen offset:0,  sc0 sc1 // load C for beta calc
_v_add_lshl_u32 v235, v3, v4, 0x1                  // scaleToBpe: accumulate d0 lower and *= bpe into Cin addr
v_cndmask_b32 v235, -1, v235, s[56:57]             // LDD clip if OOB. offset
/* (d1,vc1,d0,vc0)=(3,0,3,0) */
s_mov_b32 s52, 96                                  // coordOffset0 d0=3 vc0=0
_v_add_co_u32 v4, vcc, v0, s52                     // coord0.2: coord0 += d0*sg0*VW + vc0
v_cmp_lt_u32 s[52:53], v4, s[sgprSizeI]            // coord0 < size0
v_cmp_lt_u32 s[56:57], v1, s[sgprSizeJ]            // coord1 < size1
s_and_b64 s[56:57], s[52:53], s[56:57]             // in0 && in1
_v_add_lshl_u32 v238, v2, v4, 0x1                  // scaleToBpe: accumulate d0 lower and *= bpe into Cin addr
v_cndmask_b32 v238, -1, v238, s[56:57]             // LDC clip if OOB. offset
_buffer_load_d16_b16 v239, v238, s[sgprSrdC:sgprSrdC+3], 0, offen offset:0,  sc0 sc1 // load C for beta calc
_v_add_lshl_u32 v238, v3, v4, 0x1                  // scaleToBpe: accumulate d0 lower and *= bpe into Cin addr
v_cndmask_b32 v238, -1, v238, s[56:57]             // LDD clip if OOB. offset
/* (d1,vc1,d0,vc0)=(3,0,4,0) */
s_mov_b32 s52, 128                                 // coordOffset0 d0=4 vc0=0
_v_add_co_u32 v4, vcc, v0, s52                     // coord0.2: coord0 += d0*sg0*VW + vc0
v_cmp_lt_u32 s[52:53], v4, s[sgprSizeI]            // coord0 < size0
v_cmp_lt_u32 s[56:57], v1, s[sgprSizeJ]            // coord1 < size1
s_and_b64 s[56:57], s[52:53], s[56:57]             // in0 && in1
_v_add_lshl_u32 v241, v2, v4, 0x1                  // scaleToBpe: accumulate d0 lower and *= bpe into Cin addr
v_cndmask_b32 v241, -1, v241, s[56:57]             // LDC clip if OOB. offset
_buffer_load_d16_b16 v242, v241, s[sgprSrdC:sgprSrdC+3], 0, offen offset:0,  sc0 sc1 // load C for beta calc
_v_add_lshl_u32 v241, v3, v4, 0x1                  // scaleToBpe: accumulate d0 lower and *= bpe into Cin addr
v_cndmask_b32 v241, -1, v241, s[56:57]             // LDD clip if OOB. offset
/* (d1,vc1,d0,vc0)=(3,0,5,0) */
s_mov_b32 s52, 160                                 // coordOffset0 d0=5 vc0=0
_v_add_co_u32 v4, vcc, v0, s52                     // coord0.2: coord0 += d0*sg0*VW + vc0
v_cmp_lt_u32 s[52:53], v4, s[sgprSizeI]            // coord0 < size0
v_cmp_lt_u32 s[56:57], v1, s[sgprSizeJ]            // coord1 < size1
s_and_b64 s[56:57], s[52:53], s[56:57]             // in0 && in1
_v_add_lshl_u32 v244, v2, v4, 0x1                  // scaleToBpe: accumulate d0 lower and *= bpe into Cin addr
v_cndmask_b32 v244, -1, v244, s[56:57]             // LDC clip if OOB. offset
_buffer_load_d16_b16 v245, v244, s[sgprSrdC:sgprSrdC+3], 0, offen offset:0,  sc0 sc1 // load C for beta calc
_v_add_lshl_u32 v244, v3, v4, 0x1                  // scaleToBpe: accumulate d0 lower and *= bpe into Cin addr
v_cndmask_b32 v244, -1, v244, s[56:57]             // LDD clip if OOB. offset
/* (d1,vc1,d0,vc0)=(3,1,0,0) */
_v_add_co_u32 v1, vcc, v1, 1                       // coord1.1: coord1Vgpr += d1*sg1*VW + vc1

/* Fix for UseInitialStridesCD, emitAddressSetupCode */
_v_add_u32 v2, v2, s[sgprStrideC1J]                // ROWINC- Move cinRowPtr to next row
_v_add_u32 v3, v3, s[sgprStrideD1J]                // Move coutRowPtr to next row
v_cmp_lt_u32 s[52:53], v0, s[sgprSizeI]            // coord0 < size0
v_cmp_lt_u32 s[56:57], v1, s[sgprSizeJ]            // coord1 < size1
s_and_b64 s[56:57], s[52:53], s[56:57]             // in0 && in1
_v_add_lshl_u32 v247, v2, v0, 0x1                  // scaleToBpe: accumulate d0 lower and *= bpe into Cin addr
v_cndmask_b32 v247, -1, v247, s[56:57]             // LDC clip if OOB. offset
_buffer_load_d16_b16 v248, v247, s[sgprSrdC:sgprSrdC+3], 0, offen offset:0,  sc0 sc1 // load C for beta calc
_v_add_lshl_u32 v247, v3, v0, 0x1                  // scaleToBpe: accumulate d0 lower and *= bpe into Cin addr
v_cndmask_b32 v247, -1, v247, s[56:57]             // LDD clip if OOB. offset
/* (d1,vc1,d0,vc0)=(3,1,1,0) */
_v_add_co_u32 v4, vcc, v0, 32                      // coord0.1: coord0 += d0*sg0*VW + vc0
v_cmp_lt_u32 s[52:53], v4, s[sgprSizeI]            // coord0 < size0
v_cmp_lt_u32 s[56:57], v1, s[sgprSizeJ]            // coord1 < size1
s_and_b64 s[56:57], s[52:53], s[56:57]             // in0 && in1
_v_add_lshl_u32 v250, v2, v4, 0x1                  // scaleToBpe: accumulate d0 lower and *= bpe into Cin addr
v_cndmask_b32 v250, -1, v250, s[56:57]             // LDC clip if OOB. offset
_buffer_load_d16_b16 v251, v250, s[sgprSrdC:sgprSrdC+3], 0, offen offset:0,  sc0 sc1 // load C for beta calc
_v_add_lshl_u32 v250, v3, v4, 0x1                  // scaleToBpe: accumulate d0 lower and *= bpe into Cin addr
v_cndmask_b32 v250, -1, v250, s[56:57]             // LDD clip if OOB. offset
s_sleep 5 // optimization: sync and wait
s_barrier
v_accvgpr_read_b32 v[vgprValuC+12], acc0 // copy acc to vreg[0]
v_accvgpr_read_b32 v[vgprValuC+15], acc4 // copy acc to vreg[1]
v_accvgpr_read_b32 v[vgprValuC+18], acc8 // copy acc to vreg[2]
v_accvgpr_read_b32 v[vgprValuC+21], acc12 // copy acc to vreg[3]
v_accvgpr_read_b32 v[vgprValuC+24], acc16 // copy acc to vreg[4]
v_accvgpr_read_b32 v[vgprValuC+27], acc20 // copy acc to vreg[5]
v_accvgpr_read_b32 v[vgprValuC+30], acc1 // copy acc to vreg[6]
v_accvgpr_read_b32 v[vgprValuC+33], acc5 // copy acc to vreg[7]
v_accvgpr_read_b32 v[vgprValuC+36], acc9 // copy acc to vreg[8]
v_accvgpr_read_b32 v[vgprValuC+39], acc13 // copy acc to vreg[9]
v_accvgpr_read_b32 v[vgprValuC+42], acc17 // copy acc to vreg[10]
v_accvgpr_read_b32 v[vgprValuC+45], acc21 // copy acc to vreg[11]
v_accvgpr_read_b32 v[vgprValuC+48], acc2 // copy acc to vreg[12]
v_accvgpr_read_b32 v[vgprValuC+51], acc6 // copy acc to vreg[13]
v_accvgpr_read_b32 v[vgprValuC+54], acc10 // copy acc to vreg[14]
v_accvgpr_read_b32 v[vgprValuC+57], acc14 // copy acc to vreg[15]
v_accvgpr_read_b32 v[vgprValuC+60], acc18 // copy acc to vreg[16]
v_accvgpr_read_b32 v[vgprValuC+63], acc22 // copy acc to vreg[17]
v_accvgpr_read_b32 v[vgprValuC+66], acc3 // copy acc to vreg[18]
v_accvgpr_read_b32 v[vgprValuC+69], acc7 // copy acc to vreg[19]
v_accvgpr_read_b32 v[vgprValuC+72], acc11 // copy acc to vreg[20]
v_accvgpr_read_b32 v[vgprValuC+75], acc15 // copy acc to vreg[21]
v_accvgpr_read_b32 v[vgprValuC+78], acc19 // copy acc to vreg[22]
v_accvgpr_read_b32 v[vgprValuC+81], acc23 // copy acc to vreg[23]
v_accvgpr_read_b32 v[vgprValuC+84], acc24 // copy acc to vreg[24]
v_accvgpr_read_b32 v[vgprValuC+87], acc28 // copy acc to vreg[25]
v_accvgpr_read_b32 v[vgprValuC+90], acc32 // copy acc to vreg[26]
v_accvgpr_read_b32 v[vgprValuC+93], acc36 // copy acc to vreg[27]
v_accvgpr_read_b32 v[vgprValuC+96], acc40 // copy acc to vreg[28]
v_accvgpr_read_b32 v[vgprValuC+99], acc44 // copy acc to vreg[29]
v_accvgpr_read_b32 v[vgprValuC+102], acc25 // copy acc to vreg[30]
v_accvgpr_read_b32 v[vgprValuC+105], acc29 // copy acc to vreg[31]
v_accvgpr_read_b32 v[vgprValuC+108], acc33 // copy acc to vreg[32]
v_accvgpr_read_b32 v[vgprValuC+111], acc37 // copy acc to vreg[33]
v_accvgpr_read_b32 v[vgprValuC+114], acc41 // copy acc to vreg[34]
v_accvgpr_read_b32 v[vgprValuC+117], acc45 // copy acc to vreg[35]
v_accvgpr_read_b32 v[vgprValuC+120], acc26 // copy acc to vreg[36]
v_accvgpr_read_b32 v[vgprValuC+123], acc30 // copy acc to vreg[37]
v_accvgpr_read_b32 v[vgprValuC+126], acc34 // copy acc to vreg[38]
v_accvgpr_read_b32 v[vgprValuC+129], acc38 // copy acc to vreg[39]
v_accvgpr_read_b32 v[vgprValuC+132], acc42 // copy acc to vreg[40]
v_accvgpr_read_b32 v[vgprValuC+135], acc46 // copy acc to vreg[41]
v_accvgpr_read_b32 v[vgprValuC+138], acc27 // copy acc to vreg[42]
v_accvgpr_read_b32 v[vgprValuC+141], acc31 // copy acc to vreg[43]
v_accvgpr_read_b32 v[vgprValuC+144], acc35 // copy acc to vreg[44]
v_accvgpr_read_b32 v[vgprValuC+147], acc39 // copy acc to vreg[45]
v_accvgpr_read_b32 v[vgprValuC+150], acc43 // copy acc to vreg[46]
v_accvgpr_read_b32 v[vgprValuC+153], acc47 // copy acc to vreg[47]
v_accvgpr_read_b32 v[vgprValuC+156], acc48 // copy acc to vreg[48]
v_accvgpr_read_b32 v[vgprValuC+159], acc52 // copy acc to vreg[49]
v_accvgpr_read_b32 v[vgprValuC+162], acc56 // copy acc to vreg[50]
v_accvgpr_read_b32 v[vgprValuC+165], acc60 // copy acc to vreg[51]
v_accvgpr_read_b32 v[vgprValuC+168], acc64 // copy acc to vreg[52]
v_accvgpr_read_b32 v[vgprValuC+171], acc68 // copy acc to vreg[53]
v_accvgpr_read_b32 v[vgprValuC+177], acc49 // copy acc to vreg[54]
v_accvgpr_read_b32 v[vgprValuC+180], acc53 // copy acc to vreg[55]
v_accvgpr_read_b32 v[vgprValuC+183], acc57 // copy acc to vreg[56]
v_accvgpr_read_b32 v[vgprValuC+186], acc61 // copy acc to vreg[57]
v_accvgpr_read_b32 v[vgprValuC+189], acc65 // copy acc to vreg[58]
v_accvgpr_read_b32 v[vgprValuC+192], acc69 // copy acc to vreg[59]
v_accvgpr_read_b32 v[vgprValuC+195], acc50 // copy acc to vreg[60]
v_accvgpr_read_b32 v[vgprValuC+198], acc54 // copy acc to vreg[61]
v_accvgpr_read_b32 v[vgprValuC+201], acc58 // copy acc to vreg[62]
v_accvgpr_read_b32 v[vgprValuC+204], acc62 // copy acc to vreg[63]
v_accvgpr_read_b32 v[vgprValuC+207], acc66 // copy acc to vreg[64]
v_accvgpr_read_b32 v[vgprValuC+210], acc70 // copy acc to vreg[65]
v_accvgpr_read_b32 v[vgprValuC+213], acc51 // copy acc to vreg[66]
v_accvgpr_read_b32 v[vgprValuC+216], acc55 // copy acc to vreg[67]
v_accvgpr_read_b32 v[vgprValuC+219], acc59 // copy acc to vreg[68]
v_accvgpr_read_b32 v[vgprValuC+222], acc63 // copy acc to vreg[69]
v_accvgpr_read_b32 v[vgprValuC+225], acc67 // copy acc to vreg[70]
v_accvgpr_read_b32 v[vgprValuC+228], acc71 // copy acc to vreg[71]
v_accvgpr_read_b32 v[vgprValuC+231], acc72 // copy acc to vreg[72]
v_accvgpr_read_b32 v[vgprValuC+234], acc76 // copy acc to vreg[73]
v_accvgpr_read_b32 v[vgprValuC+237], acc80 // copy acc to vreg[74]
v_accvgpr_read_b32 v[vgprValuC+240], acc84 // copy acc to vreg[75]
v_accvgpr_read_b32 v[vgprValuC+243], acc88 // copy acc to vreg[76]
v_accvgpr_read_b32 v[vgprValuC+246], acc92 // copy acc to vreg[77]
v_accvgpr_read_b32 v[vgprValuC+249], acc73 // copy acc to vreg[78]
v_accvgpr_read_b32 v[vgprValuC+252], acc77 // copy acc to vreg[79]
s_nop 1                                            // 2 wait states required before reading vgpr

/* rC *= alpha batchElements=[(0, 0, 0, 0), (0, 1, 0, 0), (0, 2, 0, 0), (0, 3, 0, 0), (0, 4, 0, 0), (0, 5, 0, 0), (0, 0, 1, 0), (0, 1, 1, 0), (0, 2, 1, 0), (0, 3, 1, 0), (0, 4, 1, 0), (0, 5, 1, 0), (0, 0, 2, 0), (0, 1, 2, 0), (0, 2, 2, 0), (0, 3, 2, 0), (0, 4, 2, 0), (0, 5, 2, 0), (0, 0, 3, 0), (0, 1, 3, 0), (0, 2, 3, 0), (0, 3, 3, 0), (0, 4, 3, 0), (0, 5, 3, 0), (1, 0, 0, 0), (1, 1, 0, 0), (1, 2, 0, 0), (1, 3, 0, 0), (1, 4, 0, 0), (1, 5, 0, 0), (1, 0, 1, 0), (1, 1, 1, 0), (1, 2, 1, 0), (1, 3, 1, 0), (1, 4, 1, 0), (1, 5, 1, 0), (1, 0, 2, 0), (1, 1, 2, 0), (1, 2, 2, 0), (1, 3, 2, 0), (1, 4, 2, 0), (1, 5, 2, 0), (1, 0, 3, 0), (1, 1, 3, 0), (1, 2, 3, 0), (1, 3, 3, 0), (1, 4, 3, 0), (1, 5, 3, 0), (2, 0, 0, 0), (2, 1, 0, 0), (2, 2, 0, 0), (2, 3, 0, 0), (2, 4, 0, 0), (2, 5, 0, 0), (2, 0, 1, 0), (2, 1, 1, 0), (2, 2, 1, 0), (2, 3, 1, 0), (2, 4, 1, 0), (2, 5, 1, 0), (2, 0, 2, 0), (2, 1, 2, 0), (2, 2, 2, 0), (2, 3, 2, 0), (2, 4, 2, 0), (2, 5, 2, 0), (2, 0, 3, 0), (2, 1, 3, 0), (2, 2, 3, 0), (2, 3, 3, 0), (2, 4, 3, 0), (2, 5, 3, 0), (3, 0, 0, 0), (3, 1, 0, 0), (3, 2, 0, 0), (3, 3, 0, 0), (3, 4, 0, 0), (3, 5, 0, 0), (3, 0, 1, 0), (3, 1, 1, 0)] */
v_mul_f32 v[vgprValuC+12], s[sgprAlpha], v[vgprValuC+12] // *= alpha
v_mul_f32 v[vgprValuC+15], s[sgprAlpha], v[vgprValuC+15] // *= alpha
	;; [unrolled: 1-line block ×80, first 2 shown]
s_waitcnt vmcnt(0)                                 // wait C

/* apply mask, calc new C and issue writes */
v_mov_b32 v7, 0xffff0000                           // mask for pack two bfloat16 element to 32bit
v_mov_b32 v8, 0x7fff0000                           // fp32 Nan
v_mov_b32 v9, 0x7fff                               // rounding bias for bfloat16
v_lshlrev_b32 v4, 16, v11                          // convert bf16 to fp32
_v_mac_f32 v[vgprValuC+12], v4, s[sgprBeta]        // finalSum = sum*alpha + C*beta
v_cmp_u_f32 s[52:53], v[vgprValuC+12], v[vgprValuC+12] // check Nan
v_bfe_u32 v6, v[vgprValuC+12], 16, 1               // Non-Nan case: store lsb of bf16
v_add3_u32 v6, v[vgprValuC+12], v6, v9             // Non-Nan case: add lsb and the increment for rounding
v_cndmask_b32 v[vgprValuC+12], v6, v8, s[52:53]    // 
v_lshrrev_b32 v[vgprValuC+12], 16, v[vgprValuC+12] // convert C to bf16
_buffer_store_b16 v12, v10, s[sgprSrdD:sgprSrdD+3], 0, offen, offset:0,  sc0 sc1 // store D
v_lshlrev_b32 v4, 16, v14                          // convert bf16 to fp32
_v_mac_f32 v[vgprValuC+15], v4, s[sgprBeta]        // finalSum = sum*alpha + C*beta
v_cmp_u_f32 s[52:53], v[vgprValuC+15], v[vgprValuC+15] // check Nan
v_bfe_u32 v6, v[vgprValuC+15], 16, 1               // Non-Nan case: store lsb of bf16
v_add3_u32 v6, v[vgprValuC+15], v6, v9             // Non-Nan case: add lsb and the increment for rounding
v_cndmask_b32 v[vgprValuC+15], v6, v8, s[52:53]    // 
v_lshrrev_b32 v[vgprValuC+15], 16, v[vgprValuC+15] // convert C to bf16
_buffer_store_b16 v15, v13, s[sgprSrdD:sgprSrdD+3], 0, offen, offset:0,  sc0 sc1 // store D
v_lshlrev_b32 v4, 16, v17                          // convert bf16 to fp32
_v_mac_f32 v[vgprValuC+18], v4, s[sgprBeta]        // finalSum = sum*alpha + C*beta
v_cmp_u_f32 s[52:53], v[vgprValuC+18], v[vgprValuC+18] // check Nan
v_bfe_u32 v6, v[vgprValuC+18], 16, 1               // Non-Nan case: store lsb of bf16
v_add3_u32 v6, v[vgprValuC+18], v6, v9             // Non-Nan case: add lsb and the increment for rounding
v_cndmask_b32 v[vgprValuC+18], v6, v8, s[52:53]    // 
v_lshrrev_b32 v[vgprValuC+18], 16, v[vgprValuC+18] // convert C to bf16
_buffer_store_b16 v18, v16, s[sgprSrdD:sgprSrdD+3], 0, offen, offset:0,  sc0 sc1 // store D
v_lshlrev_b32 v4, 16, v20                          // convert bf16 to fp32
_v_mac_f32 v[vgprValuC+21], v4, s[sgprBeta]        // finalSum = sum*alpha + C*beta
v_cmp_u_f32 s[52:53], v[vgprValuC+21], v[vgprValuC+21] // check Nan
v_bfe_u32 v6, v[vgprValuC+21], 16, 1               // Non-Nan case: store lsb of bf16
v_add3_u32 v6, v[vgprValuC+21], v6, v9             // Non-Nan case: add lsb and the increment for rounding
v_cndmask_b32 v[vgprValuC+21], v6, v8, s[52:53]    // 
v_lshrrev_b32 v[vgprValuC+21], 16, v[vgprValuC+21] // convert C to bf16
_buffer_store_b16 v21, v19, s[sgprSrdD:sgprSrdD+3], 0, offen, offset:0,  sc0 sc1 // store D
v_lshlrev_b32 v4, 16, v23                          // convert bf16 to fp32
_v_mac_f32 v[vgprValuC+24], v4, s[sgprBeta]        // finalSum = sum*alpha + C*beta
v_cmp_u_f32 s[52:53], v[vgprValuC+24], v[vgprValuC+24] // check Nan
v_bfe_u32 v6, v[vgprValuC+24], 16, 1               // Non-Nan case: store lsb of bf16
v_add3_u32 v6, v[vgprValuC+24], v6, v9             // Non-Nan case: add lsb and the increment for rounding
v_cndmask_b32 v[vgprValuC+24], v6, v8, s[52:53]    // 
v_lshrrev_b32 v[vgprValuC+24], 16, v[vgprValuC+24] // convert C to bf16
_buffer_store_b16 v24, v22, s[sgprSrdD:sgprSrdD+3], 0, offen, offset:0,  sc0 sc1 // store D
v_lshlrev_b32 v4, 16, v26                          // convert bf16 to fp32
_v_mac_f32 v[vgprValuC+27], v4, s[sgprBeta]        // finalSum = sum*alpha + C*beta
v_cmp_u_f32 s[52:53], v[vgprValuC+27], v[vgprValuC+27] // check Nan
v_bfe_u32 v6, v[vgprValuC+27], 16, 1               // Non-Nan case: store lsb of bf16
v_add3_u32 v6, v[vgprValuC+27], v6, v9             // Non-Nan case: add lsb and the increment for rounding
v_cndmask_b32 v[vgprValuC+27], v6, v8, s[52:53]    // 
v_lshrrev_b32 v[vgprValuC+27], 16, v[vgprValuC+27] // convert C to bf16
_buffer_store_b16 v27, v25, s[sgprSrdD:sgprSrdD+3], 0, offen, offset:0,  sc0 sc1 // store D
v_lshlrev_b32 v4, 16, v29                          // convert bf16 to fp32
_v_mac_f32 v[vgprValuC+30], v4, s[sgprBeta]        // finalSum = sum*alpha + C*beta
v_cmp_u_f32 s[52:53], v[vgprValuC+30], v[vgprValuC+30] // check Nan
v_bfe_u32 v6, v[vgprValuC+30], 16, 1               // Non-Nan case: store lsb of bf16
v_add3_u32 v6, v[vgprValuC+30], v6, v9             // Non-Nan case: add lsb and the increment for rounding
v_cndmask_b32 v[vgprValuC+30], v6, v8, s[52:53]    // 
v_lshrrev_b32 v[vgprValuC+30], 16, v[vgprValuC+30] // convert C to bf16
_buffer_store_b16 v30, v28, s[sgprSrdD:sgprSrdD+3], 0, offen, offset:0,  sc0 sc1 // store D
v_lshlrev_b32 v4, 16, v32                          // convert bf16 to fp32
_v_mac_f32 v[vgprValuC+33], v4, s[sgprBeta]        // finalSum = sum*alpha + C*beta
v_cmp_u_f32 s[52:53], v[vgprValuC+33], v[vgprValuC+33] // check Nan
v_bfe_u32 v6, v[vgprValuC+33], 16, 1               // Non-Nan case: store lsb of bf16
v_add3_u32 v6, v[vgprValuC+33], v6, v9             // Non-Nan case: add lsb and the increment for rounding
v_cndmask_b32 v[vgprValuC+33], v6, v8, s[52:53]    // 
v_lshrrev_b32 v[vgprValuC+33], 16, v[vgprValuC+33] // convert C to bf16
_buffer_store_b16 v33, v31, s[sgprSrdD:sgprSrdD+3], 0, offen, offset:0,  sc0 sc1 // store D
v_lshlrev_b32 v4, 16, v35                          // convert bf16 to fp32
_v_mac_f32 v[vgprValuC+36], v4, s[sgprBeta]        // finalSum = sum*alpha + C*beta
v_cmp_u_f32 s[52:53], v[vgprValuC+36], v[vgprValuC+36] // check Nan
v_bfe_u32 v6, v[vgprValuC+36], 16, 1               // Non-Nan case: store lsb of bf16
v_add3_u32 v6, v[vgprValuC+36], v6, v9             // Non-Nan case: add lsb and the increment for rounding
v_cndmask_b32 v[vgprValuC+36], v6, v8, s[52:53]    // 
v_lshrrev_b32 v[vgprValuC+36], 16, v[vgprValuC+36] // convert C to bf16
_buffer_store_b16 v36, v34, s[sgprSrdD:sgprSrdD+3], 0, offen, offset:0,  sc0 sc1 // store D
v_lshlrev_b32 v4, 16, v38                          // convert bf16 to fp32
_v_mac_f32 v[vgprValuC+39], v4, s[sgprBeta]        // finalSum = sum*alpha + C*beta
v_cmp_u_f32 s[52:53], v[vgprValuC+39], v[vgprValuC+39] // check Nan
v_bfe_u32 v6, v[vgprValuC+39], 16, 1               // Non-Nan case: store lsb of bf16
v_add3_u32 v6, v[vgprValuC+39], v6, v9             // Non-Nan case: add lsb and the increment for rounding
v_cndmask_b32 v[vgprValuC+39], v6, v8, s[52:53]    // 
v_lshrrev_b32 v[vgprValuC+39], 16, v[vgprValuC+39] // convert C to bf16
_buffer_store_b16 v39, v37, s[sgprSrdD:sgprSrdD+3], 0, offen, offset:0,  sc0 sc1 // store D
v_lshlrev_b32 v4, 16, v41                          // convert bf16 to fp32
_v_mac_f32 v[vgprValuC+42], v4, s[sgprBeta]        // finalSum = sum*alpha + C*beta
v_cmp_u_f32 s[52:53], v[vgprValuC+42], v[vgprValuC+42] // check Nan
v_bfe_u32 v6, v[vgprValuC+42], 16, 1               // Non-Nan case: store lsb of bf16
v_add3_u32 v6, v[vgprValuC+42], v6, v9             // Non-Nan case: add lsb and the increment for rounding
v_cndmask_b32 v[vgprValuC+42], v6, v8, s[52:53]    // 
v_lshrrev_b32 v[vgprValuC+42], 16, v[vgprValuC+42] // convert C to bf16
_buffer_store_b16 v42, v40, s[sgprSrdD:sgprSrdD+3], 0, offen, offset:0,  sc0 sc1 // store D
v_lshlrev_b32 v4, 16, v44                          // convert bf16 to fp32
_v_mac_f32 v[vgprValuC+45], v4, s[sgprBeta]        // finalSum = sum*alpha + C*beta
v_cmp_u_f32 s[52:53], v[vgprValuC+45], v[vgprValuC+45] // check Nan
v_bfe_u32 v6, v[vgprValuC+45], 16, 1               // Non-Nan case: store lsb of bf16
v_add3_u32 v6, v[vgprValuC+45], v6, v9             // Non-Nan case: add lsb and the increment for rounding
v_cndmask_b32 v[vgprValuC+45], v6, v8, s[52:53]    // 
v_lshrrev_b32 v[vgprValuC+45], 16, v[vgprValuC+45] // convert C to bf16
_buffer_store_b16 v45, v43, s[sgprSrdD:sgprSrdD+3], 0, offen, offset:0,  sc0 sc1 // store D
v_lshlrev_b32 v4, 16, v47                          // convert bf16 to fp32
_v_mac_f32 v[vgprValuC+48], v4, s[sgprBeta]        // finalSum = sum*alpha + C*beta
v_cmp_u_f32 s[52:53], v[vgprValuC+48], v[vgprValuC+48] // check Nan
v_bfe_u32 v6, v[vgprValuC+48], 16, 1               // Non-Nan case: store lsb of bf16
v_add3_u32 v6, v[vgprValuC+48], v6, v9             // Non-Nan case: add lsb and the increment for rounding
v_cndmask_b32 v[vgprValuC+48], v6, v8, s[52:53]    // 
v_lshrrev_b32 v[vgprValuC+48], 16, v[vgprValuC+48] // convert C to bf16
_buffer_store_b16 v48, v46, s[sgprSrdD:sgprSrdD+3], 0, offen, offset:0,  sc0 sc1 // store D
v_lshlrev_b32 v4, 16, v50                          // convert bf16 to fp32
_v_mac_f32 v[vgprValuC+51], v4, s[sgprBeta]        // finalSum = sum*alpha + C*beta
v_cmp_u_f32 s[52:53], v[vgprValuC+51], v[vgprValuC+51] // check Nan
v_bfe_u32 v6, v[vgprValuC+51], 16, 1               // Non-Nan case: store lsb of bf16
v_add3_u32 v6, v[vgprValuC+51], v6, v9             // Non-Nan case: add lsb and the increment for rounding
v_cndmask_b32 v[vgprValuC+51], v6, v8, s[52:53]    // 
v_lshrrev_b32 v[vgprValuC+51], 16, v[vgprValuC+51] // convert C to bf16
_buffer_store_b16 v51, v49, s[sgprSrdD:sgprSrdD+3], 0, offen, offset:0,  sc0 sc1 // store D
v_lshlrev_b32 v4, 16, v53                          // convert bf16 to fp32
_v_mac_f32 v[vgprValuC+54], v4, s[sgprBeta]        // finalSum = sum*alpha + C*beta
v_cmp_u_f32 s[52:53], v[vgprValuC+54], v[vgprValuC+54] // check Nan
v_bfe_u32 v6, v[vgprValuC+54], 16, 1               // Non-Nan case: store lsb of bf16
v_add3_u32 v6, v[vgprValuC+54], v6, v9             // Non-Nan case: add lsb and the increment for rounding
v_cndmask_b32 v[vgprValuC+54], v6, v8, s[52:53]    // 
v_lshrrev_b32 v[vgprValuC+54], 16, v[vgprValuC+54] // convert C to bf16
_buffer_store_b16 v54, v52, s[sgprSrdD:sgprSrdD+3], 0, offen, offset:0,  sc0 sc1 // store D
v_lshlrev_b32 v4, 16, v56                          // convert bf16 to fp32
_v_mac_f32 v[vgprValuC+57], v4, s[sgprBeta]        // finalSum = sum*alpha + C*beta
v_cmp_u_f32 s[52:53], v[vgprValuC+57], v[vgprValuC+57] // check Nan
v_bfe_u32 v6, v[vgprValuC+57], 16, 1               // Non-Nan case: store lsb of bf16
v_add3_u32 v6, v[vgprValuC+57], v6, v9             // Non-Nan case: add lsb and the increment for rounding
v_cndmask_b32 v[vgprValuC+57], v6, v8, s[52:53]    // 
v_lshrrev_b32 v[vgprValuC+57], 16, v[vgprValuC+57] // convert C to bf16
_buffer_store_b16 v57, v55, s[sgprSrdD:sgprSrdD+3], 0, offen, offset:0,  sc0 sc1 // store D
v_lshlrev_b32 v4, 16, v59                          // convert bf16 to fp32
_v_mac_f32 v[vgprValuC+60], v4, s[sgprBeta]        // finalSum = sum*alpha + C*beta
v_cmp_u_f32 s[52:53], v[vgprValuC+60], v[vgprValuC+60] // check Nan
v_bfe_u32 v6, v[vgprValuC+60], 16, 1               // Non-Nan case: store lsb of bf16
v_add3_u32 v6, v[vgprValuC+60], v6, v9             // Non-Nan case: add lsb and the increment for rounding
v_cndmask_b32 v[vgprValuC+60], v6, v8, s[52:53]    // 
v_lshrrev_b32 v[vgprValuC+60], 16, v[vgprValuC+60] // convert C to bf16
_buffer_store_b16 v60, v58, s[sgprSrdD:sgprSrdD+3], 0, offen, offset:0,  sc0 sc1 // store D
v_lshlrev_b32 v4, 16, v62                          // convert bf16 to fp32
_v_mac_f32 v[vgprValuC+63], v4, s[sgprBeta]        // finalSum = sum*alpha + C*beta
v_cmp_u_f32 s[52:53], v[vgprValuC+63], v[vgprValuC+63] // check Nan
v_bfe_u32 v6, v[vgprValuC+63], 16, 1               // Non-Nan case: store lsb of bf16
v_add3_u32 v6, v[vgprValuC+63], v6, v9             // Non-Nan case: add lsb and the increment for rounding
v_cndmask_b32 v[vgprValuC+63], v6, v8, s[52:53]    // 
v_lshrrev_b32 v[vgprValuC+63], 16, v[vgprValuC+63] // convert C to bf16
_buffer_store_b16 v63, v61, s[sgprSrdD:sgprSrdD+3], 0, offen, offset:0,  sc0 sc1 // store D
v_lshlrev_b32 v4, 16, v65                          // convert bf16 to fp32
_v_mac_f32 v[vgprValuC+66], v4, s[sgprBeta]        // finalSum = sum*alpha + C*beta
v_cmp_u_f32 s[52:53], v[vgprValuC+66], v[vgprValuC+66] // check Nan
v_bfe_u32 v6, v[vgprValuC+66], 16, 1               // Non-Nan case: store lsb of bf16
v_add3_u32 v6, v[vgprValuC+66], v6, v9             // Non-Nan case: add lsb and the increment for rounding
v_cndmask_b32 v[vgprValuC+66], v6, v8, s[52:53]    // 
v_lshrrev_b32 v[vgprValuC+66], 16, v[vgprValuC+66] // convert C to bf16
_buffer_store_b16 v66, v64, s[sgprSrdD:sgprSrdD+3], 0, offen, offset:0,  sc0 sc1 // store D
v_lshlrev_b32 v4, 16, v68                          // convert bf16 to fp32
_v_mac_f32 v[vgprValuC+69], v4, s[sgprBeta]        // finalSum = sum*alpha + C*beta
v_cmp_u_f32 s[52:53], v[vgprValuC+69], v[vgprValuC+69] // check Nan
v_bfe_u32 v6, v[vgprValuC+69], 16, 1               // Non-Nan case: store lsb of bf16
v_add3_u32 v6, v[vgprValuC+69], v6, v9             // Non-Nan case: add lsb and the increment for rounding
v_cndmask_b32 v[vgprValuC+69], v6, v8, s[52:53]    // 
v_lshrrev_b32 v[vgprValuC+69], 16, v[vgprValuC+69] // convert C to bf16
_buffer_store_b16 v69, v67, s[sgprSrdD:sgprSrdD+3], 0, offen, offset:0,  sc0 sc1 // store D
v_lshlrev_b32 v4, 16, v71                          // convert bf16 to fp32
_v_mac_f32 v[vgprValuC+72], v4, s[sgprBeta]        // finalSum = sum*alpha + C*beta
v_cmp_u_f32 s[52:53], v[vgprValuC+72], v[vgprValuC+72] // check Nan
v_bfe_u32 v6, v[vgprValuC+72], 16, 1               // Non-Nan case: store lsb of bf16
v_add3_u32 v6, v[vgprValuC+72], v6, v9             // Non-Nan case: add lsb and the increment for rounding
v_cndmask_b32 v[vgprValuC+72], v6, v8, s[52:53]    // 
v_lshrrev_b32 v[vgprValuC+72], 16, v[vgprValuC+72] // convert C to bf16
_buffer_store_b16 v72, v70, s[sgprSrdD:sgprSrdD+3], 0, offen, offset:0,  sc0 sc1 // store D
v_lshlrev_b32 v4, 16, v74                          // convert bf16 to fp32
_v_mac_f32 v[vgprValuC+75], v4, s[sgprBeta]        // finalSum = sum*alpha + C*beta
v_cmp_u_f32 s[52:53], v[vgprValuC+75], v[vgprValuC+75] // check Nan
v_bfe_u32 v6, v[vgprValuC+75], 16, 1               // Non-Nan case: store lsb of bf16
v_add3_u32 v6, v[vgprValuC+75], v6, v9             // Non-Nan case: add lsb and the increment for rounding
v_cndmask_b32 v[vgprValuC+75], v6, v8, s[52:53]    // 
v_lshrrev_b32 v[vgprValuC+75], 16, v[vgprValuC+75] // convert C to bf16
_buffer_store_b16 v75, v73, s[sgprSrdD:sgprSrdD+3], 0, offen, offset:0,  sc0 sc1 // store D
v_lshlrev_b32 v4, 16, v77                          // convert bf16 to fp32
_v_mac_f32 v[vgprValuC+78], v4, s[sgprBeta]        // finalSum = sum*alpha + C*beta
v_cmp_u_f32 s[52:53], v[vgprValuC+78], v[vgprValuC+78] // check Nan
v_bfe_u32 v6, v[vgprValuC+78], 16, 1               // Non-Nan case: store lsb of bf16
v_add3_u32 v6, v[vgprValuC+78], v6, v9             // Non-Nan case: add lsb and the increment for rounding
v_cndmask_b32 v[vgprValuC+78], v6, v8, s[52:53]    // 
v_lshrrev_b32 v[vgprValuC+78], 16, v[vgprValuC+78] // convert C to bf16
_buffer_store_b16 v78, v76, s[sgprSrdD:sgprSrdD+3], 0, offen, offset:0,  sc0 sc1 // store D
v_lshlrev_b32 v4, 16, v80                          // convert bf16 to fp32
_v_mac_f32 v[vgprValuC+81], v4, s[sgprBeta]        // finalSum = sum*alpha + C*beta
v_cmp_u_f32 s[52:53], v[vgprValuC+81], v[vgprValuC+81] // check Nan
v_bfe_u32 v6, v[vgprValuC+81], 16, 1               // Non-Nan case: store lsb of bf16
v_add3_u32 v6, v[vgprValuC+81], v6, v9             // Non-Nan case: add lsb and the increment for rounding
v_cndmask_b32 v[vgprValuC+81], v6, v8, s[52:53]    // 
v_lshrrev_b32 v[vgprValuC+81], 16, v[vgprValuC+81] // convert C to bf16
_buffer_store_b16 v81, v79, s[sgprSrdD:sgprSrdD+3], 0, offen, offset:0,  sc0 sc1 // store D
v_lshlrev_b32 v4, 16, v83                          // convert bf16 to fp32
_v_mac_f32 v[vgprValuC+84], v4, s[sgprBeta]        // finalSum = sum*alpha + C*beta
v_cmp_u_f32 s[52:53], v[vgprValuC+84], v[vgprValuC+84] // check Nan
v_bfe_u32 v6, v[vgprValuC+84], 16, 1               // Non-Nan case: store lsb of bf16
v_add3_u32 v6, v[vgprValuC+84], v6, v9             // Non-Nan case: add lsb and the increment for rounding
v_cndmask_b32 v[vgprValuC+84], v6, v8, s[52:53]    // 
v_lshrrev_b32 v[vgprValuC+84], 16, v[vgprValuC+84] // convert C to bf16
_buffer_store_b16 v84, v82, s[sgprSrdD:sgprSrdD+3], 0, offen, offset:0,  sc0 sc1 // store D
v_lshlrev_b32 v4, 16, v86                          // convert bf16 to fp32
_v_mac_f32 v[vgprValuC+87], v4, s[sgprBeta]        // finalSum = sum*alpha + C*beta
v_cmp_u_f32 s[52:53], v[vgprValuC+87], v[vgprValuC+87] // check Nan
v_bfe_u32 v6, v[vgprValuC+87], 16, 1               // Non-Nan case: store lsb of bf16
v_add3_u32 v6, v[vgprValuC+87], v6, v9             // Non-Nan case: add lsb and the increment for rounding
v_cndmask_b32 v[vgprValuC+87], v6, v8, s[52:53]    // 
v_lshrrev_b32 v[vgprValuC+87], 16, v[vgprValuC+87] // convert C to bf16
_buffer_store_b16 v87, v85, s[sgprSrdD:sgprSrdD+3], 0, offen, offset:0,  sc0 sc1 // store D
v_lshlrev_b32 v4, 16, v89                          // convert bf16 to fp32
_v_mac_f32 v[vgprValuC+90], v4, s[sgprBeta]        // finalSum = sum*alpha + C*beta
v_cmp_u_f32 s[52:53], v[vgprValuC+90], v[vgprValuC+90] // check Nan
v_bfe_u32 v6, v[vgprValuC+90], 16, 1               // Non-Nan case: store lsb of bf16
v_add3_u32 v6, v[vgprValuC+90], v6, v9             // Non-Nan case: add lsb and the increment for rounding
v_cndmask_b32 v[vgprValuC+90], v6, v8, s[52:53]    // 
v_lshrrev_b32 v[vgprValuC+90], 16, v[vgprValuC+90] // convert C to bf16
_buffer_store_b16 v90, v88, s[sgprSrdD:sgprSrdD+3], 0, offen, offset:0,  sc0 sc1 // store D
v_lshlrev_b32 v4, 16, v92                          // convert bf16 to fp32
_v_mac_f32 v[vgprValuC+93], v4, s[sgprBeta]        // finalSum = sum*alpha + C*beta
v_cmp_u_f32 s[52:53], v[vgprValuC+93], v[vgprValuC+93] // check Nan
v_bfe_u32 v6, v[vgprValuC+93], 16, 1               // Non-Nan case: store lsb of bf16
v_add3_u32 v6, v[vgprValuC+93], v6, v9             // Non-Nan case: add lsb and the increment for rounding
v_cndmask_b32 v[vgprValuC+93], v6, v8, s[52:53]    // 
v_lshrrev_b32 v[vgprValuC+93], 16, v[vgprValuC+93] // convert C to bf16
_buffer_store_b16 v93, v91, s[sgprSrdD:sgprSrdD+3], 0, offen, offset:0,  sc0 sc1 // store D
v_lshlrev_b32 v4, 16, v95                          // convert bf16 to fp32
_v_mac_f32 v[vgprValuC+96], v4, s[sgprBeta]        // finalSum = sum*alpha + C*beta
v_cmp_u_f32 s[52:53], v[vgprValuC+96], v[vgprValuC+96] // check Nan
v_bfe_u32 v6, v[vgprValuC+96], 16, 1               // Non-Nan case: store lsb of bf16
v_add3_u32 v6, v[vgprValuC+96], v6, v9             // Non-Nan case: add lsb and the increment for rounding
v_cndmask_b32 v[vgprValuC+96], v6, v8, s[52:53]    // 
v_lshrrev_b32 v[vgprValuC+96], 16, v[vgprValuC+96] // convert C to bf16
_buffer_store_b16 v96, v94, s[sgprSrdD:sgprSrdD+3], 0, offen, offset:0,  sc0 sc1 // store D
v_lshlrev_b32 v4, 16, v98                          // convert bf16 to fp32
_v_mac_f32 v[vgprValuC+99], v4, s[sgprBeta]        // finalSum = sum*alpha + C*beta
v_cmp_u_f32 s[52:53], v[vgprValuC+99], v[vgprValuC+99] // check Nan
v_bfe_u32 v6, v[vgprValuC+99], 16, 1               // Non-Nan case: store lsb of bf16
v_add3_u32 v6, v[vgprValuC+99], v6, v9             // Non-Nan case: add lsb and the increment for rounding
v_cndmask_b32 v[vgprValuC+99], v6, v8, s[52:53]    // 
v_lshrrev_b32 v[vgprValuC+99], 16, v[vgprValuC+99] // convert C to bf16
_buffer_store_b16 v99, v97, s[sgprSrdD:sgprSrdD+3], 0, offen, offset:0,  sc0 sc1 // store D
v_lshlrev_b32 v4, 16, v101                         // convert bf16 to fp32
_v_mac_f32 v[vgprValuC+102], v4, s[sgprBeta]       // finalSum = sum*alpha + C*beta
v_cmp_u_f32 s[52:53], v[vgprValuC+102], v[vgprValuC+102] // check Nan
v_bfe_u32 v6, v[vgprValuC+102], 16, 1              // Non-Nan case: store lsb of bf16
v_add3_u32 v6, v[vgprValuC+102], v6, v9            // Non-Nan case: add lsb and the increment for rounding
v_cndmask_b32 v[vgprValuC+102], v6, v8, s[52:53]   // 
v_lshrrev_b32 v[vgprValuC+102], 16, v[vgprValuC+102] // convert C to bf16
_buffer_store_b16 v102, v100, s[sgprSrdD:sgprSrdD+3], 0, offen, offset:0,  sc0 sc1 // store D
v_lshlrev_b32 v4, 16, v104                         // convert bf16 to fp32
_v_mac_f32 v[vgprValuC+105], v4, s[sgprBeta]       // finalSum = sum*alpha + C*beta
v_cmp_u_f32 s[52:53], v[vgprValuC+105], v[vgprValuC+105] // check Nan
v_bfe_u32 v6, v[vgprValuC+105], 16, 1              // Non-Nan case: store lsb of bf16
v_add3_u32 v6, v[vgprValuC+105], v6, v9            // Non-Nan case: add lsb and the increment for rounding
v_cndmask_b32 v[vgprValuC+105], v6, v8, s[52:53]   // 
v_lshrrev_b32 v[vgprValuC+105], 16, v[vgprValuC+105] // convert C to bf16
_buffer_store_b16 v105, v103, s[sgprSrdD:sgprSrdD+3], 0, offen, offset:0,  sc0 sc1 // store D
	;; [unrolled: 8-line block ×50, first 2 shown]
s_nop 0                                            // 1 wait state required when next inst writes vgprs held by previous dwordx4 store inst
/* optSingleColVgpr=0 optSharedColVgpr=0 optSGPRUsage=BufferLoad_Edge_Mask optSrdIncForRow=0 */
s_sleep 5 // optimization: sync and wait
s_barrier

/******************************************/
/* Global Write Alpha Beta Edge Batch #1 (d1,d0,vc1,vc0) = */
/*    (3,2,1,0:vw1); (3,3,1,0:vw1); (3,4,1,0:vw1); (3,5,1,0:vw1); (3,0,2,0:vw1); (3,1,2,0:vw1); (3,2,2,0:vw1); (3,3,2,0:vw1); (3,4,2,0:vw1); (3,5,2,0:vw1); (3,0,3,0:vw1); (3,1,3,0:vw1); (3,2,3,0:vw1); (3,3,3,0:vw1); (3,4,3,0:vw1); (3,5,3,0:vw1); (4,0,0,0:vw1); (4,1,0,0:vw1); (4,2,0,0:vw1); (4,3,0,0:vw1); (4,4,0,0:vw1); (4,5,0,0:vw1); (4,0,1,0:vw1); (4,1,1,0:vw1); (4,2,1,0:vw1); (4,3,1,0:vw1); (4,4,1,0:vw1); (4,5,1,0:vw1); (4,0,2,0:vw1); (4,1,2,0:vw1); (4,2,2,0:vw1); (4,3,2,0:vw1); (4,4,2,0:vw1); (4,5,2,0:vw1); (4,0,3,0:vw1); (4,1,3,0:vw1); (4,2,3,0:vw1); (4,3,3,0:vw1); (4,4,3,0:vw1); (4,5,3,0:vw1); (5,0,0,0:vw1); (5,1,0,0:vw1); (5,2,0,0:vw1); (5,3,0,0:vw1); (5,4,0,0:vw1); (5,5,0,0:vw1); (5,0,1,0:vw1); (5,1,1,0:vw1); (5,2,1,0:vw1); (5,3,1,0:vw1); (5,4,1,0:vw1); (5,5,1,0:vw1); (5,0,2,0:vw1); (5,1,2,0:vw1); (5,2,2,0:vw1); (5,3,2,0:vw1); (5,4,2,0:vw1); (5,5,2,0:vw1); (5,0,3,0:vw1); (5,1,3,0:vw1); (5,2,3,0:vw1); (5,3,3,0:vw1); (5,4,3,0:vw1); (5,5,3,0:vw1); (6,0,0,0:vw1); (6,1,0,0:vw1); (6,2,0,0:vw1); (6,3,0,0:vw1); (6,4,0,0:vw1); (6,5,0,0:vw1); (6,0,1,0:vw1); (6,1,1,0:vw1); (6,2,1,0:vw1); (6,3,1,0:vw1); (6,4,1,0:vw1); (6,5,1,0:vw1); (6,0,2,0:vw1); (6,1,2,0:vw1); (6,2,2,0:vw1); (6,3,2,0:vw1) */
/******************************************/

/* calc coords, apply mask, and issue loads (if necessary) */
/* (d1,vc1,d0,vc0)=(3,1,2,0) */
_v_add_co_u32 v4, vcc, v0, 64                      // coord0.1: coord0 += d0*sg0*VW + vc0
v_cmp_lt_u32 s[52:53], v4, s[sgprSizeI]            // coord0 < size0
v_cmp_lt_u32 s[56:57], v1, s[sgprSizeJ]            // coord1 < size1
s_and_b64 s[56:57], s[52:53], s[56:57]             // in0 && in1
_v_add_lshl_u32 v10, v2, v4, 0x1                   // scaleToBpe: accumulate d0 lower and *= bpe into Cin addr
v_cndmask_b32 v10, -1, v10, s[56:57]               // LDC clip if OOB. offset
_buffer_load_d16_b16 v11, v10, s[sgprSrdC:sgprSrdC+3], 0, offen offset:0,  sc0 sc1 // load C for beta calc
_v_add_lshl_u32 v10, v3, v4, 0x1                   // scaleToBpe: accumulate d0 lower and *= bpe into Cin addr
v_cndmask_b32 v10, -1, v10, s[56:57]               // LDD clip if OOB. offset
/* (d1,vc1,d0,vc0)=(3,1,3,0) */
s_mov_b32 s52, 96                                  // coordOffset0 d0=3 vc0=0
_v_add_co_u32 v4, vcc, v0, s52                     // coord0.2: coord0 += d0*sg0*VW + vc0
v_cmp_lt_u32 s[52:53], v4, s[sgprSizeI]            // coord0 < size0
v_cmp_lt_u32 s[56:57], v1, s[sgprSizeJ]            // coord1 < size1
s_and_b64 s[56:57], s[52:53], s[56:57]             // in0 && in1
_v_add_lshl_u32 v13, v2, v4, 0x1                   // scaleToBpe: accumulate d0 lower and *= bpe into Cin addr
v_cndmask_b32 v13, -1, v13, s[56:57]               // LDC clip if OOB. offset
_buffer_load_d16_b16 v14, v13, s[sgprSrdC:sgprSrdC+3], 0, offen offset:0,  sc0 sc1 // load C for beta calc
_v_add_lshl_u32 v13, v3, v4, 0x1                   // scaleToBpe: accumulate d0 lower and *= bpe into Cin addr
v_cndmask_b32 v13, -1, v13, s[56:57]               // LDD clip if OOB. offset
/* (d1,vc1,d0,vc0)=(3,1,4,0) */
s_mov_b32 s52, 128                                 // coordOffset0 d0=4 vc0=0
_v_add_co_u32 v4, vcc, v0, s52                     // coord0.2: coord0 += d0*sg0*VW + vc0
v_cmp_lt_u32 s[52:53], v4, s[sgprSizeI]            // coord0 < size0
v_cmp_lt_u32 s[56:57], v1, s[sgprSizeJ]            // coord1 < size1
s_and_b64 s[56:57], s[52:53], s[56:57]             // in0 && in1
_v_add_lshl_u32 v16, v2, v4, 0x1                   // scaleToBpe: accumulate d0 lower and *= bpe into Cin addr
v_cndmask_b32 v16, -1, v16, s[56:57]               // LDC clip if OOB. offset
_buffer_load_d16_b16 v17, v16, s[sgprSrdC:sgprSrdC+3], 0, offen offset:0,  sc0 sc1 // load C for beta calc
_v_add_lshl_u32 v16, v3, v4, 0x1                   // scaleToBpe: accumulate d0 lower and *= bpe into Cin addr
v_cndmask_b32 v16, -1, v16, s[56:57]               // LDD clip if OOB. offset
/* (d1,vc1,d0,vc0)=(3,1,5,0) */
s_mov_b32 s52, 160                                 // coordOffset0 d0=5 vc0=0
_v_add_co_u32 v4, vcc, v0, s52                     // coord0.2: coord0 += d0*sg0*VW + vc0
v_cmp_lt_u32 s[52:53], v4, s[sgprSizeI]            // coord0 < size0
v_cmp_lt_u32 s[56:57], v1, s[sgprSizeJ]            // coord1 < size1
s_and_b64 s[56:57], s[52:53], s[56:57]             // in0 && in1
_v_add_lshl_u32 v19, v2, v4, 0x1                   // scaleToBpe: accumulate d0 lower and *= bpe into Cin addr
v_cndmask_b32 v19, -1, v19, s[56:57]               // LDC clip if OOB. offset
_buffer_load_d16_b16 v20, v19, s[sgprSrdC:sgprSrdC+3], 0, offen offset:0,  sc0 sc1 // load C for beta calc
_v_add_lshl_u32 v19, v3, v4, 0x1                   // scaleToBpe: accumulate d0 lower and *= bpe into Cin addr
v_cndmask_b32 v19, -1, v19, s[56:57]               // LDD clip if OOB. offset
/* (d1,vc1,d0,vc0)=(3,2,0,0) */
_v_add_co_u32 v1, vcc, v1, 1                       // coord1.1: coord1Vgpr += d1*sg1*VW + vc1

/* Fix for UseInitialStridesCD, emitAddressSetupCode */
_v_add_u32 v2, v2, s[sgprStrideC1J]                // ROWINC- Move cinRowPtr to next row
_v_add_u32 v3, v3, s[sgprStrideD1J]                // Move coutRowPtr to next row
v_cmp_lt_u32 s[52:53], v0, s[sgprSizeI]            // coord0 < size0
v_cmp_lt_u32 s[56:57], v1, s[sgprSizeJ]            // coord1 < size1
s_and_b64 s[56:57], s[52:53], s[56:57]             // in0 && in1
_v_add_lshl_u32 v22, v2, v0, 0x1                   // scaleToBpe: accumulate d0 lower and *= bpe into Cin addr
v_cndmask_b32 v22, -1, v22, s[56:57]               // LDC clip if OOB. offset
_buffer_load_d16_b16 v23, v22, s[sgprSrdC:sgprSrdC+3], 0, offen offset:0,  sc0 sc1 // load C for beta calc
_v_add_lshl_u32 v22, v3, v0, 0x1                   // scaleToBpe: accumulate d0 lower and *= bpe into Cin addr
v_cndmask_b32 v22, -1, v22, s[56:57]               // LDD clip if OOB. offset
/* (d1,vc1,d0,vc0)=(3,2,1,0) */
_v_add_co_u32 v4, vcc, v0, 32                      // coord0.1: coord0 += d0*sg0*VW + vc0
v_cmp_lt_u32 s[52:53], v4, s[sgprSizeI]            // coord0 < size0
v_cmp_lt_u32 s[56:57], v1, s[sgprSizeJ]            // coord1 < size1
s_and_b64 s[56:57], s[52:53], s[56:57]             // in0 && in1
_v_add_lshl_u32 v25, v2, v4, 0x1                   // scaleToBpe: accumulate d0 lower and *= bpe into Cin addr
v_cndmask_b32 v25, -1, v25, s[56:57]               // LDC clip if OOB. offset
_buffer_load_d16_b16 v26, v25, s[sgprSrdC:sgprSrdC+3], 0, offen offset:0,  sc0 sc1 // load C for beta calc
_v_add_lshl_u32 v25, v3, v4, 0x1                   // scaleToBpe: accumulate d0 lower and *= bpe into Cin addr
v_cndmask_b32 v25, -1, v25, s[56:57]               // LDD clip if OOB. offset
/* (d1,vc1,d0,vc0)=(3,2,2,0) */
_v_add_co_u32 v4, vcc, v0, 64                      // coord0.1: coord0 += d0*sg0*VW + vc0
v_cmp_lt_u32 s[52:53], v4, s[sgprSizeI]            // coord0 < size0
v_cmp_lt_u32 s[56:57], v1, s[sgprSizeJ]            // coord1 < size1
s_and_b64 s[56:57], s[52:53], s[56:57]             // in0 && in1
_v_add_lshl_u32 v28, v2, v4, 0x1                   // scaleToBpe: accumulate d0 lower and *= bpe into Cin addr
v_cndmask_b32 v28, -1, v28, s[56:57]               // LDC clip if OOB. offset
_buffer_load_d16_b16 v29, v28, s[sgprSrdC:sgprSrdC+3], 0, offen offset:0,  sc0 sc1 // load C for beta calc
_v_add_lshl_u32 v28, v3, v4, 0x1                   // scaleToBpe: accumulate d0 lower and *= bpe into Cin addr
v_cndmask_b32 v28, -1, v28, s[56:57]               // LDD clip if OOB. offset
/* (d1,vc1,d0,vc0)=(3,2,3,0) */
s_mov_b32 s52, 96                                  // coordOffset0 d0=3 vc0=0
_v_add_co_u32 v4, vcc, v0, s52                     // coord0.2: coord0 += d0*sg0*VW + vc0
v_cmp_lt_u32 s[52:53], v4, s[sgprSizeI]            // coord0 < size0
v_cmp_lt_u32 s[56:57], v1, s[sgprSizeJ]            // coord1 < size1
s_and_b64 s[56:57], s[52:53], s[56:57]             // in0 && in1
_v_add_lshl_u32 v31, v2, v4, 0x1                   // scaleToBpe: accumulate d0 lower and *= bpe into Cin addr
v_cndmask_b32 v31, -1, v31, s[56:57]               // LDC clip if OOB. offset
_buffer_load_d16_b16 v32, v31, s[sgprSrdC:sgprSrdC+3], 0, offen offset:0,  sc0 sc1 // load C for beta calc
_v_add_lshl_u32 v31, v3, v4, 0x1                   // scaleToBpe: accumulate d0 lower and *= bpe into Cin addr
v_cndmask_b32 v31, -1, v31, s[56:57]               // LDD clip if OOB. offset
/* (d1,vc1,d0,vc0)=(3,2,4,0) */
s_mov_b32 s52, 128                                 // coordOffset0 d0=4 vc0=0
_v_add_co_u32 v4, vcc, v0, s52                     // coord0.2: coord0 += d0*sg0*VW + vc0
v_cmp_lt_u32 s[52:53], v4, s[sgprSizeI]            // coord0 < size0
v_cmp_lt_u32 s[56:57], v1, s[sgprSizeJ]            // coord1 < size1
s_and_b64 s[56:57], s[52:53], s[56:57]             // in0 && in1
_v_add_lshl_u32 v34, v2, v4, 0x1                   // scaleToBpe: accumulate d0 lower and *= bpe into Cin addr
v_cndmask_b32 v34, -1, v34, s[56:57]               // LDC clip if OOB. offset
_buffer_load_d16_b16 v35, v34, s[sgprSrdC:sgprSrdC+3], 0, offen offset:0,  sc0 sc1 // load C for beta calc
_v_add_lshl_u32 v34, v3, v4, 0x1                   // scaleToBpe: accumulate d0 lower and *= bpe into Cin addr
v_cndmask_b32 v34, -1, v34, s[56:57]               // LDD clip if OOB. offset
/* (d1,vc1,d0,vc0)=(3,2,5,0) */
s_mov_b32 s52, 160                                 // coordOffset0 d0=5 vc0=0
_v_add_co_u32 v4, vcc, v0, s52                     // coord0.2: coord0 += d0*sg0*VW + vc0
v_cmp_lt_u32 s[52:53], v4, s[sgprSizeI]            // coord0 < size0
v_cmp_lt_u32 s[56:57], v1, s[sgprSizeJ]            // coord1 < size1
s_and_b64 s[56:57], s[52:53], s[56:57]             // in0 && in1
_v_add_lshl_u32 v37, v2, v4, 0x1                   // scaleToBpe: accumulate d0 lower and *= bpe into Cin addr
v_cndmask_b32 v37, -1, v37, s[56:57]               // LDC clip if OOB. offset
_buffer_load_d16_b16 v38, v37, s[sgprSrdC:sgprSrdC+3], 0, offen offset:0,  sc0 sc1 // load C for beta calc
_v_add_lshl_u32 v37, v3, v4, 0x1                   // scaleToBpe: accumulate d0 lower and *= bpe into Cin addr
v_cndmask_b32 v37, -1, v37, s[56:57]               // LDD clip if OOB. offset
/* (d1,vc1,d0,vc0)=(3,3,0,0) */
_v_add_co_u32 v1, vcc, v1, 1                       // coord1.1: coord1Vgpr += d1*sg1*VW + vc1

/* Fix for UseInitialStridesCD, emitAddressSetupCode */
_v_add_u32 v2, v2, s[sgprStrideC1J]                // ROWINC- Move cinRowPtr to next row
_v_add_u32 v3, v3, s[sgprStrideD1J]                // Move coutRowPtr to next row
v_cmp_lt_u32 s[52:53], v0, s[sgprSizeI]            // coord0 < size0
v_cmp_lt_u32 s[56:57], v1, s[sgprSizeJ]            // coord1 < size1
s_and_b64 s[56:57], s[52:53], s[56:57]             // in0 && in1
_v_add_lshl_u32 v40, v2, v0, 0x1                   // scaleToBpe: accumulate d0 lower and *= bpe into Cin addr
v_cndmask_b32 v40, -1, v40, s[56:57]               // LDC clip if OOB. offset
_buffer_load_d16_b16 v41, v40, s[sgprSrdC:sgprSrdC+3], 0, offen offset:0,  sc0 sc1 // load C for beta calc
_v_add_lshl_u32 v40, v3, v0, 0x1                   // scaleToBpe: accumulate d0 lower and *= bpe into Cin addr
v_cndmask_b32 v40, -1, v40, s[56:57]               // LDD clip if OOB. offset
/* (d1,vc1,d0,vc0)=(3,3,1,0) */
_v_add_co_u32 v4, vcc, v0, 32                      // coord0.1: coord0 += d0*sg0*VW + vc0
v_cmp_lt_u32 s[52:53], v4, s[sgprSizeI]            // coord0 < size0
v_cmp_lt_u32 s[56:57], v1, s[sgprSizeJ]            // coord1 < size1
s_and_b64 s[56:57], s[52:53], s[56:57]             // in0 && in1
_v_add_lshl_u32 v43, v2, v4, 0x1                   // scaleToBpe: accumulate d0 lower and *= bpe into Cin addr
v_cndmask_b32 v43, -1, v43, s[56:57]               // LDC clip if OOB. offset
_buffer_load_d16_b16 v44, v43, s[sgprSrdC:sgprSrdC+3], 0, offen offset:0,  sc0 sc1 // load C for beta calc
_v_add_lshl_u32 v43, v3, v4, 0x1                   // scaleToBpe: accumulate d0 lower and *= bpe into Cin addr
v_cndmask_b32 v43, -1, v43, s[56:57]               // LDD clip if OOB. offset
/* (d1,vc1,d0,vc0)=(3,3,2,0) */
_v_add_co_u32 v4, vcc, v0, 64                      // coord0.1: coord0 += d0*sg0*VW + vc0
v_cmp_lt_u32 s[52:53], v4, s[sgprSizeI]            // coord0 < size0
v_cmp_lt_u32 s[56:57], v1, s[sgprSizeJ]            // coord1 < size1
s_and_b64 s[56:57], s[52:53], s[56:57]             // in0 && in1
_v_add_lshl_u32 v46, v2, v4, 0x1                   // scaleToBpe: accumulate d0 lower and *= bpe into Cin addr
v_cndmask_b32 v46, -1, v46, s[56:57]               // LDC clip if OOB. offset
_buffer_load_d16_b16 v47, v46, s[sgprSrdC:sgprSrdC+3], 0, offen offset:0,  sc0 sc1 // load C for beta calc
_v_add_lshl_u32 v46, v3, v4, 0x1                   // scaleToBpe: accumulate d0 lower and *= bpe into Cin addr
v_cndmask_b32 v46, -1, v46, s[56:57]               // LDD clip if OOB. offset
/* (d1,vc1,d0,vc0)=(3,3,3,0) */
s_mov_b32 s52, 96                                  // coordOffset0 d0=3 vc0=0
_v_add_co_u32 v4, vcc, v0, s52                     // coord0.2: coord0 += d0*sg0*VW + vc0
v_cmp_lt_u32 s[52:53], v4, s[sgprSizeI]            // coord0 < size0
v_cmp_lt_u32 s[56:57], v1, s[sgprSizeJ]            // coord1 < size1
s_and_b64 s[56:57], s[52:53], s[56:57]             // in0 && in1
_v_add_lshl_u32 v49, v2, v4, 0x1                   // scaleToBpe: accumulate d0 lower and *= bpe into Cin addr
v_cndmask_b32 v49, -1, v49, s[56:57]               // LDC clip if OOB. offset
_buffer_load_d16_b16 v50, v49, s[sgprSrdC:sgprSrdC+3], 0, offen offset:0,  sc0 sc1 // load C for beta calc
_v_add_lshl_u32 v49, v3, v4, 0x1                   // scaleToBpe: accumulate d0 lower and *= bpe into Cin addr
v_cndmask_b32 v49, -1, v49, s[56:57]               // LDD clip if OOB. offset
/* (d1,vc1,d0,vc0)=(3,3,4,0) */
s_mov_b32 s52, 128                                 // coordOffset0 d0=4 vc0=0
_v_add_co_u32 v4, vcc, v0, s52                     // coord0.2: coord0 += d0*sg0*VW + vc0
v_cmp_lt_u32 s[52:53], v4, s[sgprSizeI]            // coord0 < size0
v_cmp_lt_u32 s[56:57], v1, s[sgprSizeJ]            // coord1 < size1
s_and_b64 s[56:57], s[52:53], s[56:57]             // in0 && in1
_v_add_lshl_u32 v52, v2, v4, 0x1                   // scaleToBpe: accumulate d0 lower and *= bpe into Cin addr
v_cndmask_b32 v52, -1, v52, s[56:57]               // LDC clip if OOB. offset
_buffer_load_d16_b16 v53, v52, s[sgprSrdC:sgprSrdC+3], 0, offen offset:0,  sc0 sc1 // load C for beta calc
_v_add_lshl_u32 v52, v3, v4, 0x1                   // scaleToBpe: accumulate d0 lower and *= bpe into Cin addr
v_cndmask_b32 v52, -1, v52, s[56:57]               // LDD clip if OOB. offset
/* (d1,vc1,d0,vc0)=(3,3,5,0) */
s_mov_b32 s52, 160                                 // coordOffset0 d0=5 vc0=0
_v_add_co_u32 v4, vcc, v0, s52                     // coord0.2: coord0 += d0*sg0*VW + vc0
v_cmp_lt_u32 s[52:53], v4, s[sgprSizeI]            // coord0 < size0
v_cmp_lt_u32 s[56:57], v1, s[sgprSizeJ]            // coord1 < size1
s_and_b64 s[56:57], s[52:53], s[56:57]             // in0 && in1
_v_add_lshl_u32 v55, v2, v4, 0x1                   // scaleToBpe: accumulate d0 lower and *= bpe into Cin addr
v_cndmask_b32 v55, -1, v55, s[56:57]               // LDC clip if OOB. offset
_buffer_load_d16_b16 v56, v55, s[sgprSrdC:sgprSrdC+3], 0, offen offset:0,  sc0 sc1 // load C for beta calc
_v_add_lshl_u32 v55, v3, v4, 0x1                   // scaleToBpe: accumulate d0 lower and *= bpe into Cin addr
v_cndmask_b32 v55, -1, v55, s[56:57]               // LDD clip if OOB. offset
/* (d1,vc1,d0,vc0)=(4,0,0,0) */
_v_add_co_u32 v1, vcc, v1, 29                      // coord1.1: coord1Vgpr += d1*sg1*VW + vc1

/* Fix for UseInitialStridesCD, emitAddressSetupCode */
s_mul_i32 s52, s[sgprStrideC1J], 29                // scale stride
_v_add_u32 v2, v2, s52                             // ROWINC- Move cinRowPtr to next row
s_mul_i32 s52, s[sgprStrideD1J], 29                // scale stride
_v_add_u32 v3, v3, s52                             // Move coutRowPtr to next row
v_cmp_lt_u32 s[52:53], v0, s[sgprSizeI]            // coord0 < size0
v_cmp_lt_u32 s[56:57], v1, s[sgprSizeJ]            // coord1 < size1
s_and_b64 s[56:57], s[52:53], s[56:57]             // in0 && in1
_v_add_lshl_u32 v58, v2, v0, 0x1                   // scaleToBpe: accumulate d0 lower and *= bpe into Cin addr
v_cndmask_b32 v58, -1, v58, s[56:57]               // LDC clip if OOB. offset
_buffer_load_d16_b16 v59, v58, s[sgprSrdC:sgprSrdC+3], 0, offen offset:0,  sc0 sc1 // load C for beta calc
_v_add_lshl_u32 v58, v3, v0, 0x1                   // scaleToBpe: accumulate d0 lower and *= bpe into Cin addr
v_cndmask_b32 v58, -1, v58, s[56:57]               // LDD clip if OOB. offset
/* (d1,vc1,d0,vc0)=(4,0,1,0) */
_v_add_co_u32 v4, vcc, v0, 32                      // coord0.1: coord0 += d0*sg0*VW + vc0
v_cmp_lt_u32 s[52:53], v4, s[sgprSizeI]            // coord0 < size0
v_cmp_lt_u32 s[56:57], v1, s[sgprSizeJ]            // coord1 < size1
s_and_b64 s[56:57], s[52:53], s[56:57]             // in0 && in1
_v_add_lshl_u32 v61, v2, v4, 0x1                   // scaleToBpe: accumulate d0 lower and *= bpe into Cin addr
v_cndmask_b32 v61, -1, v61, s[56:57]               // LDC clip if OOB. offset
_buffer_load_d16_b16 v62, v61, s[sgprSrdC:sgprSrdC+3], 0, offen offset:0,  sc0 sc1 // load C for beta calc
_v_add_lshl_u32 v61, v3, v4, 0x1                   // scaleToBpe: accumulate d0 lower and *= bpe into Cin addr
v_cndmask_b32 v61, -1, v61, s[56:57]               // LDD clip if OOB. offset
/* (d1,vc1,d0,vc0)=(4,0,2,0) */
_v_add_co_u32 v4, vcc, v0, 64                      // coord0.1: coord0 += d0*sg0*VW + vc0
v_cmp_lt_u32 s[52:53], v4, s[sgprSizeI]            // coord0 < size0
v_cmp_lt_u32 s[56:57], v1, s[sgprSizeJ]            // coord1 < size1
s_and_b64 s[56:57], s[52:53], s[56:57]             // in0 && in1
_v_add_lshl_u32 v64, v2, v4, 0x1                   // scaleToBpe: accumulate d0 lower and *= bpe into Cin addr
v_cndmask_b32 v64, -1, v64, s[56:57]               // LDC clip if OOB. offset
_buffer_load_d16_b16 v65, v64, s[sgprSrdC:sgprSrdC+3], 0, offen offset:0,  sc0 sc1 // load C for beta calc
_v_add_lshl_u32 v64, v3, v4, 0x1                   // scaleToBpe: accumulate d0 lower and *= bpe into Cin addr
v_cndmask_b32 v64, -1, v64, s[56:57]               // LDD clip if OOB. offset
/* (d1,vc1,d0,vc0)=(4,0,3,0) */
s_mov_b32 s52, 96                                  // coordOffset0 d0=3 vc0=0
_v_add_co_u32 v4, vcc, v0, s52                     // coord0.2: coord0 += d0*sg0*VW + vc0
v_cmp_lt_u32 s[52:53], v4, s[sgprSizeI]            // coord0 < size0
v_cmp_lt_u32 s[56:57], v1, s[sgprSizeJ]            // coord1 < size1
s_and_b64 s[56:57], s[52:53], s[56:57]             // in0 && in1
_v_add_lshl_u32 v67, v2, v4, 0x1                   // scaleToBpe: accumulate d0 lower and *= bpe into Cin addr
v_cndmask_b32 v67, -1, v67, s[56:57]               // LDC clip if OOB. offset
_buffer_load_d16_b16 v68, v67, s[sgprSrdC:sgprSrdC+3], 0, offen offset:0,  sc0 sc1 // load C for beta calc
_v_add_lshl_u32 v67, v3, v4, 0x1                   // scaleToBpe: accumulate d0 lower and *= bpe into Cin addr
v_cndmask_b32 v67, -1, v67, s[56:57]               // LDD clip if OOB. offset
/* (d1,vc1,d0,vc0)=(4,0,4,0) */
s_mov_b32 s52, 128                                 // coordOffset0 d0=4 vc0=0
_v_add_co_u32 v4, vcc, v0, s52                     // coord0.2: coord0 += d0*sg0*VW + vc0
v_cmp_lt_u32 s[52:53], v4, s[sgprSizeI]            // coord0 < size0
v_cmp_lt_u32 s[56:57], v1, s[sgprSizeJ]            // coord1 < size1
s_and_b64 s[56:57], s[52:53], s[56:57]             // in0 && in1
_v_add_lshl_u32 v70, v2, v4, 0x1                   // scaleToBpe: accumulate d0 lower and *= bpe into Cin addr
v_cndmask_b32 v70, -1, v70, s[56:57]               // LDC clip if OOB. offset
_buffer_load_d16_b16 v71, v70, s[sgprSrdC:sgprSrdC+3], 0, offen offset:0,  sc0 sc1 // load C for beta calc
_v_add_lshl_u32 v70, v3, v4, 0x1                   // scaleToBpe: accumulate d0 lower and *= bpe into Cin addr
v_cndmask_b32 v70, -1, v70, s[56:57]               // LDD clip if OOB. offset
/* (d1,vc1,d0,vc0)=(4,0,5,0) */
s_mov_b32 s52, 160                                 // coordOffset0 d0=5 vc0=0
_v_add_co_u32 v4, vcc, v0, s52                     // coord0.2: coord0 += d0*sg0*VW + vc0
v_cmp_lt_u32 s[52:53], v4, s[sgprSizeI]            // coord0 < size0
v_cmp_lt_u32 s[56:57], v1, s[sgprSizeJ]            // coord1 < size1
s_and_b64 s[56:57], s[52:53], s[56:57]             // in0 && in1
_v_add_lshl_u32 v73, v2, v4, 0x1                   // scaleToBpe: accumulate d0 lower and *= bpe into Cin addr
v_cndmask_b32 v73, -1, v73, s[56:57]               // LDC clip if OOB. offset
_buffer_load_d16_b16 v74, v73, s[sgprSrdC:sgprSrdC+3], 0, offen offset:0,  sc0 sc1 // load C for beta calc
_v_add_lshl_u32 v73, v3, v4, 0x1                   // scaleToBpe: accumulate d0 lower and *= bpe into Cin addr
v_cndmask_b32 v73, -1, v73, s[56:57]               // LDD clip if OOB. offset
/* (d1,vc1,d0,vc0)=(4,1,0,0) */
_v_add_co_u32 v1, vcc, v1, 1                       // coord1.1: coord1Vgpr += d1*sg1*VW + vc1

/* Fix for UseInitialStridesCD, emitAddressSetupCode */
_v_add_u32 v2, v2, s[sgprStrideC1J]                // ROWINC- Move cinRowPtr to next row
_v_add_u32 v3, v3, s[sgprStrideD1J]                // Move coutRowPtr to next row
v_cmp_lt_u32 s[52:53], v0, s[sgprSizeI]            // coord0 < size0
v_cmp_lt_u32 s[56:57], v1, s[sgprSizeJ]            // coord1 < size1
s_and_b64 s[56:57], s[52:53], s[56:57]             // in0 && in1
_v_add_lshl_u32 v76, v2, v0, 0x1                   // scaleToBpe: accumulate d0 lower and *= bpe into Cin addr
v_cndmask_b32 v76, -1, v76, s[56:57]               // LDC clip if OOB. offset
_buffer_load_d16_b16 v77, v76, s[sgprSrdC:sgprSrdC+3], 0, offen offset:0,  sc0 sc1 // load C for beta calc
_v_add_lshl_u32 v76, v3, v0, 0x1                   // scaleToBpe: accumulate d0 lower and *= bpe into Cin addr
v_cndmask_b32 v76, -1, v76, s[56:57]               // LDD clip if OOB. offset
/* (d1,vc1,d0,vc0)=(4,1,1,0) */
_v_add_co_u32 v4, vcc, v0, 32                      // coord0.1: coord0 += d0*sg0*VW + vc0
v_cmp_lt_u32 s[52:53], v4, s[sgprSizeI]            // coord0 < size0
v_cmp_lt_u32 s[56:57], v1, s[sgprSizeJ]            // coord1 < size1
s_and_b64 s[56:57], s[52:53], s[56:57]             // in0 && in1
_v_add_lshl_u32 v79, v2, v4, 0x1                   // scaleToBpe: accumulate d0 lower and *= bpe into Cin addr
v_cndmask_b32 v79, -1, v79, s[56:57]               // LDC clip if OOB. offset
_buffer_load_d16_b16 v80, v79, s[sgprSrdC:sgprSrdC+3], 0, offen offset:0,  sc0 sc1 // load C for beta calc
_v_add_lshl_u32 v79, v3, v4, 0x1                   // scaleToBpe: accumulate d0 lower and *= bpe into Cin addr
v_cndmask_b32 v79, -1, v79, s[56:57]               // LDD clip if OOB. offset
/* (d1,vc1,d0,vc0)=(4,1,2,0) */
_v_add_co_u32 v4, vcc, v0, 64                      // coord0.1: coord0 += d0*sg0*VW + vc0
v_cmp_lt_u32 s[52:53], v4, s[sgprSizeI]            // coord0 < size0
v_cmp_lt_u32 s[56:57], v1, s[sgprSizeJ]            // coord1 < size1
s_and_b64 s[56:57], s[52:53], s[56:57]             // in0 && in1
_v_add_lshl_u32 v82, v2, v4, 0x1                   // scaleToBpe: accumulate d0 lower and *= bpe into Cin addr
v_cndmask_b32 v82, -1, v82, s[56:57]               // LDC clip if OOB. offset
_buffer_load_d16_b16 v83, v82, s[sgprSrdC:sgprSrdC+3], 0, offen offset:0,  sc0 sc1 // load C for beta calc
_v_add_lshl_u32 v82, v3, v4, 0x1                   // scaleToBpe: accumulate d0 lower and *= bpe into Cin addr
v_cndmask_b32 v82, -1, v82, s[56:57]               // LDD clip if OOB. offset
/* (d1,vc1,d0,vc0)=(4,1,3,0) */
s_mov_b32 s52, 96                                  // coordOffset0 d0=3 vc0=0
_v_add_co_u32 v4, vcc, v0, s52                     // coord0.2: coord0 += d0*sg0*VW + vc0
v_cmp_lt_u32 s[52:53], v4, s[sgprSizeI]            // coord0 < size0
v_cmp_lt_u32 s[56:57], v1, s[sgprSizeJ]            // coord1 < size1
s_and_b64 s[56:57], s[52:53], s[56:57]             // in0 && in1
_v_add_lshl_u32 v85, v2, v4, 0x1                   // scaleToBpe: accumulate d0 lower and *= bpe into Cin addr
v_cndmask_b32 v85, -1, v85, s[56:57]               // LDC clip if OOB. offset
_buffer_load_d16_b16 v86, v85, s[sgprSrdC:sgprSrdC+3], 0, offen offset:0,  sc0 sc1 // load C for beta calc
_v_add_lshl_u32 v85, v3, v4, 0x1                   // scaleToBpe: accumulate d0 lower and *= bpe into Cin addr
v_cndmask_b32 v85, -1, v85, s[56:57]               // LDD clip if OOB. offset
/* (d1,vc1,d0,vc0)=(4,1,4,0) */
s_mov_b32 s52, 128                                 // coordOffset0 d0=4 vc0=0
_v_add_co_u32 v4, vcc, v0, s52                     // coord0.2: coord0 += d0*sg0*VW + vc0
v_cmp_lt_u32 s[52:53], v4, s[sgprSizeI]            // coord0 < size0
v_cmp_lt_u32 s[56:57], v1, s[sgprSizeJ]            // coord1 < size1
s_and_b64 s[56:57], s[52:53], s[56:57]             // in0 && in1
_v_add_lshl_u32 v88, v2, v4, 0x1                   // scaleToBpe: accumulate d0 lower and *= bpe into Cin addr
v_cndmask_b32 v88, -1, v88, s[56:57]               // LDC clip if OOB. offset
_buffer_load_d16_b16 v89, v88, s[sgprSrdC:sgprSrdC+3], 0, offen offset:0,  sc0 sc1 // load C for beta calc
_v_add_lshl_u32 v88, v3, v4, 0x1                   // scaleToBpe: accumulate d0 lower and *= bpe into Cin addr
v_cndmask_b32 v88, -1, v88, s[56:57]               // LDD clip if OOB. offset
/* (d1,vc1,d0,vc0)=(4,1,5,0) */
s_mov_b32 s52, 160                                 // coordOffset0 d0=5 vc0=0
_v_add_co_u32 v4, vcc, v0, s52                     // coord0.2: coord0 += d0*sg0*VW + vc0
v_cmp_lt_u32 s[52:53], v4, s[sgprSizeI]            // coord0 < size0
v_cmp_lt_u32 s[56:57], v1, s[sgprSizeJ]            // coord1 < size1
s_and_b64 s[56:57], s[52:53], s[56:57]             // in0 && in1
_v_add_lshl_u32 v91, v2, v4, 0x1                   // scaleToBpe: accumulate d0 lower and *= bpe into Cin addr
v_cndmask_b32 v91, -1, v91, s[56:57]               // LDC clip if OOB. offset
_buffer_load_d16_b16 v92, v91, s[sgprSrdC:sgprSrdC+3], 0, offen offset:0,  sc0 sc1 // load C for beta calc
_v_add_lshl_u32 v91, v3, v4, 0x1                   // scaleToBpe: accumulate d0 lower and *= bpe into Cin addr
v_cndmask_b32 v91, -1, v91, s[56:57]               // LDD clip if OOB. offset
/* (d1,vc1,d0,vc0)=(4,2,0,0) */
_v_add_co_u32 v1, vcc, v1, 1                       // coord1.1: coord1Vgpr += d1*sg1*VW + vc1

/* Fix for UseInitialStridesCD, emitAddressSetupCode */
_v_add_u32 v2, v2, s[sgprStrideC1J]                // ROWINC- Move cinRowPtr to next row
_v_add_u32 v3, v3, s[sgprStrideD1J]                // Move coutRowPtr to next row
v_cmp_lt_u32 s[52:53], v0, s[sgprSizeI]            // coord0 < size0
v_cmp_lt_u32 s[56:57], v1, s[sgprSizeJ]            // coord1 < size1
s_and_b64 s[56:57], s[52:53], s[56:57]             // in0 && in1
_v_add_lshl_u32 v94, v2, v0, 0x1                   // scaleToBpe: accumulate d0 lower and *= bpe into Cin addr
v_cndmask_b32 v94, -1, v94, s[56:57]               // LDC clip if OOB. offset
_buffer_load_d16_b16 v95, v94, s[sgprSrdC:sgprSrdC+3], 0, offen offset:0,  sc0 sc1 // load C for beta calc
_v_add_lshl_u32 v94, v3, v0, 0x1                   // scaleToBpe: accumulate d0 lower and *= bpe into Cin addr
v_cndmask_b32 v94, -1, v94, s[56:57]               // LDD clip if OOB. offset
/* (d1,vc1,d0,vc0)=(4,2,1,0) */
_v_add_co_u32 v4, vcc, v0, 32                      // coord0.1: coord0 += d0*sg0*VW + vc0
v_cmp_lt_u32 s[52:53], v4, s[sgprSizeI]            // coord0 < size0
v_cmp_lt_u32 s[56:57], v1, s[sgprSizeJ]            // coord1 < size1
s_and_b64 s[56:57], s[52:53], s[56:57]             // in0 && in1
_v_add_lshl_u32 v97, v2, v4, 0x1                   // scaleToBpe: accumulate d0 lower and *= bpe into Cin addr
v_cndmask_b32 v97, -1, v97, s[56:57]               // LDC clip if OOB. offset
_buffer_load_d16_b16 v98, v97, s[sgprSrdC:sgprSrdC+3], 0, offen offset:0,  sc0 sc1 // load C for beta calc
_v_add_lshl_u32 v97, v3, v4, 0x1                   // scaleToBpe: accumulate d0 lower and *= bpe into Cin addr
v_cndmask_b32 v97, -1, v97, s[56:57]               // LDD clip if OOB. offset
/* (d1,vc1,d0,vc0)=(4,2,2,0) */
_v_add_co_u32 v4, vcc, v0, 64                      // coord0.1: coord0 += d0*sg0*VW + vc0
v_cmp_lt_u32 s[52:53], v4, s[sgprSizeI]            // coord0 < size0
v_cmp_lt_u32 s[56:57], v1, s[sgprSizeJ]            // coord1 < size1
s_and_b64 s[56:57], s[52:53], s[56:57]             // in0 && in1
_v_add_lshl_u32 v100, v2, v4, 0x1                  // scaleToBpe: accumulate d0 lower and *= bpe into Cin addr
v_cndmask_b32 v100, -1, v100, s[56:57]             // LDC clip if OOB. offset
_buffer_load_d16_b16 v101, v100, s[sgprSrdC:sgprSrdC+3], 0, offen offset:0,  sc0 sc1 // load C for beta calc
_v_add_lshl_u32 v100, v3, v4, 0x1                  // scaleToBpe: accumulate d0 lower and *= bpe into Cin addr
v_cndmask_b32 v100, -1, v100, s[56:57]             // LDD clip if OOB. offset
/* (d1,vc1,d0,vc0)=(4,2,3,0) */
s_mov_b32 s52, 96                                  // coordOffset0 d0=3 vc0=0
_v_add_co_u32 v4, vcc, v0, s52                     // coord0.2: coord0 += d0*sg0*VW + vc0
v_cmp_lt_u32 s[52:53], v4, s[sgprSizeI]            // coord0 < size0
v_cmp_lt_u32 s[56:57], v1, s[sgprSizeJ]            // coord1 < size1
s_and_b64 s[56:57], s[52:53], s[56:57]             // in0 && in1
_v_add_lshl_u32 v103, v2, v4, 0x1                  // scaleToBpe: accumulate d0 lower and *= bpe into Cin addr
v_cndmask_b32 v103, -1, v103, s[56:57]             // LDC clip if OOB. offset
_buffer_load_d16_b16 v104, v103, s[sgprSrdC:sgprSrdC+3], 0, offen offset:0,  sc0 sc1 // load C for beta calc
_v_add_lshl_u32 v103, v3, v4, 0x1                  // scaleToBpe: accumulate d0 lower and *= bpe into Cin addr
v_cndmask_b32 v103, -1, v103, s[56:57]             // LDD clip if OOB. offset
/* (d1,vc1,d0,vc0)=(4,2,4,0) */
s_mov_b32 s52, 128                                 // coordOffset0 d0=4 vc0=0
_v_add_co_u32 v4, vcc, v0, s52                     // coord0.2: coord0 += d0*sg0*VW + vc0
v_cmp_lt_u32 s[52:53], v4, s[sgprSizeI]            // coord0 < size0
v_cmp_lt_u32 s[56:57], v1, s[sgprSizeJ]            // coord1 < size1
s_and_b64 s[56:57], s[52:53], s[56:57]             // in0 && in1
_v_add_lshl_u32 v106, v2, v4, 0x1                  // scaleToBpe: accumulate d0 lower and *= bpe into Cin addr
v_cndmask_b32 v106, -1, v106, s[56:57]             // LDC clip if OOB. offset
_buffer_load_d16_b16 v107, v106, s[sgprSrdC:sgprSrdC+3], 0, offen offset:0,  sc0 sc1 // load C for beta calc
_v_add_lshl_u32 v106, v3, v4, 0x1                  // scaleToBpe: accumulate d0 lower and *= bpe into Cin addr
v_cndmask_b32 v106, -1, v106, s[56:57]             // LDD clip if OOB. offset
/* (d1,vc1,d0,vc0)=(4,2,5,0) */
s_mov_b32 s52, 160                                 // coordOffset0 d0=5 vc0=0
_v_add_co_u32 v4, vcc, v0, s52                     // coord0.2: coord0 += d0*sg0*VW + vc0
v_cmp_lt_u32 s[52:53], v4, s[sgprSizeI]            // coord0 < size0
v_cmp_lt_u32 s[56:57], v1, s[sgprSizeJ]            // coord1 < size1
s_and_b64 s[56:57], s[52:53], s[56:57]             // in0 && in1
_v_add_lshl_u32 v109, v2, v4, 0x1                  // scaleToBpe: accumulate d0 lower and *= bpe into Cin addr
v_cndmask_b32 v109, -1, v109, s[56:57]             // LDC clip if OOB. offset
_buffer_load_d16_b16 v110, v109, s[sgprSrdC:sgprSrdC+3], 0, offen offset:0,  sc0 sc1 // load C for beta calc
_v_add_lshl_u32 v109, v3, v4, 0x1                  // scaleToBpe: accumulate d0 lower and *= bpe into Cin addr
v_cndmask_b32 v109, -1, v109, s[56:57]             // LDD clip if OOB. offset
/* (d1,vc1,d0,vc0)=(4,3,0,0) */
_v_add_co_u32 v1, vcc, v1, 1                       // coord1.1: coord1Vgpr += d1*sg1*VW + vc1

/* Fix for UseInitialStridesCD, emitAddressSetupCode */
_v_add_u32 v2, v2, s[sgprStrideC1J]                // ROWINC- Move cinRowPtr to next row
_v_add_u32 v3, v3, s[sgprStrideD1J]                // Move coutRowPtr to next row
v_cmp_lt_u32 s[52:53], v0, s[sgprSizeI]            // coord0 < size0
v_cmp_lt_u32 s[56:57], v1, s[sgprSizeJ]            // coord1 < size1
s_and_b64 s[56:57], s[52:53], s[56:57]             // in0 && in1
_v_add_lshl_u32 v112, v2, v0, 0x1                  // scaleToBpe: accumulate d0 lower and *= bpe into Cin addr
v_cndmask_b32 v112, -1, v112, s[56:57]             // LDC clip if OOB. offset
_buffer_load_d16_b16 v113, v112, s[sgprSrdC:sgprSrdC+3], 0, offen offset:0,  sc0 sc1 // load C for beta calc
_v_add_lshl_u32 v112, v3, v0, 0x1                  // scaleToBpe: accumulate d0 lower and *= bpe into Cin addr
v_cndmask_b32 v112, -1, v112, s[56:57]             // LDD clip if OOB. offset
/* (d1,vc1,d0,vc0)=(4,3,1,0) */
_v_add_co_u32 v4, vcc, v0, 32                      // coord0.1: coord0 += d0*sg0*VW + vc0
v_cmp_lt_u32 s[52:53], v4, s[sgprSizeI]            // coord0 < size0
v_cmp_lt_u32 s[56:57], v1, s[sgprSizeJ]            // coord1 < size1
s_and_b64 s[56:57], s[52:53], s[56:57]             // in0 && in1
_v_add_lshl_u32 v115, v2, v4, 0x1                  // scaleToBpe: accumulate d0 lower and *= bpe into Cin addr
v_cndmask_b32 v115, -1, v115, s[56:57]             // LDC clip if OOB. offset
_buffer_load_d16_b16 v116, v115, s[sgprSrdC:sgprSrdC+3], 0, offen offset:0,  sc0 sc1 // load C for beta calc
_v_add_lshl_u32 v115, v3, v4, 0x1                  // scaleToBpe: accumulate d0 lower and *= bpe into Cin addr
v_cndmask_b32 v115, -1, v115, s[56:57]             // LDD clip if OOB. offset
/* (d1,vc1,d0,vc0)=(4,3,2,0) */
_v_add_co_u32 v4, vcc, v0, 64                      // coord0.1: coord0 += d0*sg0*VW + vc0
v_cmp_lt_u32 s[52:53], v4, s[sgprSizeI]            // coord0 < size0
v_cmp_lt_u32 s[56:57], v1, s[sgprSizeJ]            // coord1 < size1
s_and_b64 s[56:57], s[52:53], s[56:57]             // in0 && in1
_v_add_lshl_u32 v118, v2, v4, 0x1                  // scaleToBpe: accumulate d0 lower and *= bpe into Cin addr
v_cndmask_b32 v118, -1, v118, s[56:57]             // LDC clip if OOB. offset
_buffer_load_d16_b16 v119, v118, s[sgprSrdC:sgprSrdC+3], 0, offen offset:0,  sc0 sc1 // load C for beta calc
_v_add_lshl_u32 v118, v3, v4, 0x1                  // scaleToBpe: accumulate d0 lower and *= bpe into Cin addr
v_cndmask_b32 v118, -1, v118, s[56:57]             // LDD clip if OOB. offset
/* (d1,vc1,d0,vc0)=(4,3,3,0) */
s_mov_b32 s52, 96                                  // coordOffset0 d0=3 vc0=0
_v_add_co_u32 v4, vcc, v0, s52                     // coord0.2: coord0 += d0*sg0*VW + vc0
v_cmp_lt_u32 s[52:53], v4, s[sgprSizeI]            // coord0 < size0
v_cmp_lt_u32 s[56:57], v1, s[sgprSizeJ]            // coord1 < size1
s_and_b64 s[56:57], s[52:53], s[56:57]             // in0 && in1
_v_add_lshl_u32 v121, v2, v4, 0x1                  // scaleToBpe: accumulate d0 lower and *= bpe into Cin addr
v_cndmask_b32 v121, -1, v121, s[56:57]             // LDC clip if OOB. offset
_buffer_load_d16_b16 v122, v121, s[sgprSrdC:sgprSrdC+3], 0, offen offset:0,  sc0 sc1 // load C for beta calc
_v_add_lshl_u32 v121, v3, v4, 0x1                  // scaleToBpe: accumulate d0 lower and *= bpe into Cin addr
v_cndmask_b32 v121, -1, v121, s[56:57]             // LDD clip if OOB. offset
/* (d1,vc1,d0,vc0)=(4,3,4,0) */
s_mov_b32 s52, 128                                 // coordOffset0 d0=4 vc0=0
_v_add_co_u32 v4, vcc, v0, s52                     // coord0.2: coord0 += d0*sg0*VW + vc0
v_cmp_lt_u32 s[52:53], v4, s[sgprSizeI]            // coord0 < size0
v_cmp_lt_u32 s[56:57], v1, s[sgprSizeJ]            // coord1 < size1
s_and_b64 s[56:57], s[52:53], s[56:57]             // in0 && in1
_v_add_lshl_u32 v124, v2, v4, 0x1                  // scaleToBpe: accumulate d0 lower and *= bpe into Cin addr
v_cndmask_b32 v124, -1, v124, s[56:57]             // LDC clip if OOB. offset
_buffer_load_d16_b16 v125, v124, s[sgprSrdC:sgprSrdC+3], 0, offen offset:0,  sc0 sc1 // load C for beta calc
_v_add_lshl_u32 v124, v3, v4, 0x1                  // scaleToBpe: accumulate d0 lower and *= bpe into Cin addr
v_cndmask_b32 v124, -1, v124, s[56:57]             // LDD clip if OOB. offset
/* (d1,vc1,d0,vc0)=(4,3,5,0) */
s_mov_b32 s52, 160                                 // coordOffset0 d0=5 vc0=0
_v_add_co_u32 v4, vcc, v0, s52                     // coord0.2: coord0 += d0*sg0*VW + vc0
v_cmp_lt_u32 s[52:53], v4, s[sgprSizeI]            // coord0 < size0
v_cmp_lt_u32 s[56:57], v1, s[sgprSizeJ]            // coord1 < size1
s_and_b64 s[56:57], s[52:53], s[56:57]             // in0 && in1
_v_add_lshl_u32 v127, v2, v4, 0x1                  // scaleToBpe: accumulate d0 lower and *= bpe into Cin addr
v_cndmask_b32 v127, -1, v127, s[56:57]             // LDC clip if OOB. offset
_buffer_load_d16_b16 v128, v127, s[sgprSrdC:sgprSrdC+3], 0, offen offset:0,  sc0 sc1 // load C for beta calc
_v_add_lshl_u32 v127, v3, v4, 0x1                  // scaleToBpe: accumulate d0 lower and *= bpe into Cin addr
v_cndmask_b32 v127, -1, v127, s[56:57]             // LDD clip if OOB. offset
/* (d1,vc1,d0,vc0)=(5,0,0,0) */
_v_add_co_u32 v1, vcc, v1, 29                      // coord1.1: coord1Vgpr += d1*sg1*VW + vc1

/* Fix for UseInitialStridesCD, emitAddressSetupCode */
s_mul_i32 s52, s[sgprStrideC1J], 29                // scale stride
_v_add_u32 v2, v2, s52                             // ROWINC- Move cinRowPtr to next row
s_mul_i32 s52, s[sgprStrideD1J], 29                // scale stride
_v_add_u32 v3, v3, s52                             // Move coutRowPtr to next row
v_cmp_lt_u32 s[52:53], v0, s[sgprSizeI]            // coord0 < size0
v_cmp_lt_u32 s[56:57], v1, s[sgprSizeJ]            // coord1 < size1
s_and_b64 s[56:57], s[52:53], s[56:57]             // in0 && in1
_v_add_lshl_u32 v130, v2, v0, 0x1                  // scaleToBpe: accumulate d0 lower and *= bpe into Cin addr
v_cndmask_b32 v130, -1, v130, s[56:57]             // LDC clip if OOB. offset
_buffer_load_d16_b16 v131, v130, s[sgprSrdC:sgprSrdC+3], 0, offen offset:0,  sc0 sc1 // load C for beta calc
_v_add_lshl_u32 v130, v3, v0, 0x1                  // scaleToBpe: accumulate d0 lower and *= bpe into Cin addr
v_cndmask_b32 v130, -1, v130, s[56:57]             // LDD clip if OOB. offset
/* (d1,vc1,d0,vc0)=(5,0,1,0) */
_v_add_co_u32 v4, vcc, v0, 32                      // coord0.1: coord0 += d0*sg0*VW + vc0
v_cmp_lt_u32 s[52:53], v4, s[sgprSizeI]            // coord0 < size0
v_cmp_lt_u32 s[56:57], v1, s[sgprSizeJ]            // coord1 < size1
s_and_b64 s[56:57], s[52:53], s[56:57]             // in0 && in1
_v_add_lshl_u32 v133, v2, v4, 0x1                  // scaleToBpe: accumulate d0 lower and *= bpe into Cin addr
v_cndmask_b32 v133, -1, v133, s[56:57]             // LDC clip if OOB. offset
_buffer_load_d16_b16 v134, v133, s[sgprSrdC:sgprSrdC+3], 0, offen offset:0,  sc0 sc1 // load C for beta calc
_v_add_lshl_u32 v133, v3, v4, 0x1                  // scaleToBpe: accumulate d0 lower and *= bpe into Cin addr
v_cndmask_b32 v133, -1, v133, s[56:57]             // LDD clip if OOB. offset
/* (d1,vc1,d0,vc0)=(5,0,2,0) */
_v_add_co_u32 v4, vcc, v0, 64                      // coord0.1: coord0 += d0*sg0*VW + vc0
v_cmp_lt_u32 s[52:53], v4, s[sgprSizeI]            // coord0 < size0
v_cmp_lt_u32 s[56:57], v1, s[sgprSizeJ]            // coord1 < size1
s_and_b64 s[56:57], s[52:53], s[56:57]             // in0 && in1
_v_add_lshl_u32 v136, v2, v4, 0x1                  // scaleToBpe: accumulate d0 lower and *= bpe into Cin addr
v_cndmask_b32 v136, -1, v136, s[56:57]             // LDC clip if OOB. offset
_buffer_load_d16_b16 v137, v136, s[sgprSrdC:sgprSrdC+3], 0, offen offset:0,  sc0 sc1 // load C for beta calc
_v_add_lshl_u32 v136, v3, v4, 0x1                  // scaleToBpe: accumulate d0 lower and *= bpe into Cin addr
v_cndmask_b32 v136, -1, v136, s[56:57]             // LDD clip if OOB. offset
/* (d1,vc1,d0,vc0)=(5,0,3,0) */
s_mov_b32 s52, 96                                  // coordOffset0 d0=3 vc0=0
_v_add_co_u32 v4, vcc, v0, s52                     // coord0.2: coord0 += d0*sg0*VW + vc0
v_cmp_lt_u32 s[52:53], v4, s[sgprSizeI]            // coord0 < size0
v_cmp_lt_u32 s[56:57], v1, s[sgprSizeJ]            // coord1 < size1
s_and_b64 s[56:57], s[52:53], s[56:57]             // in0 && in1
_v_add_lshl_u32 v139, v2, v4, 0x1                  // scaleToBpe: accumulate d0 lower and *= bpe into Cin addr
v_cndmask_b32 v139, -1, v139, s[56:57]             // LDC clip if OOB. offset
_buffer_load_d16_b16 v140, v139, s[sgprSrdC:sgprSrdC+3], 0, offen offset:0,  sc0 sc1 // load C for beta calc
_v_add_lshl_u32 v139, v3, v4, 0x1                  // scaleToBpe: accumulate d0 lower and *= bpe into Cin addr
v_cndmask_b32 v139, -1, v139, s[56:57]             // LDD clip if OOB. offset
/* (d1,vc1,d0,vc0)=(5,0,4,0) */
s_mov_b32 s52, 128                                 // coordOffset0 d0=4 vc0=0
_v_add_co_u32 v4, vcc, v0, s52                     // coord0.2: coord0 += d0*sg0*VW + vc0
v_cmp_lt_u32 s[52:53], v4, s[sgprSizeI]            // coord0 < size0
v_cmp_lt_u32 s[56:57], v1, s[sgprSizeJ]            // coord1 < size1
s_and_b64 s[56:57], s[52:53], s[56:57]             // in0 && in1
_v_add_lshl_u32 v142, v2, v4, 0x1                  // scaleToBpe: accumulate d0 lower and *= bpe into Cin addr
v_cndmask_b32 v142, -1, v142, s[56:57]             // LDC clip if OOB. offset
_buffer_load_d16_b16 v143, v142, s[sgprSrdC:sgprSrdC+3], 0, offen offset:0,  sc0 sc1 // load C for beta calc
_v_add_lshl_u32 v142, v3, v4, 0x1                  // scaleToBpe: accumulate d0 lower and *= bpe into Cin addr
v_cndmask_b32 v142, -1, v142, s[56:57]             // LDD clip if OOB. offset
/* (d1,vc1,d0,vc0)=(5,0,5,0) */
s_mov_b32 s52, 160                                 // coordOffset0 d0=5 vc0=0
_v_add_co_u32 v4, vcc, v0, s52                     // coord0.2: coord0 += d0*sg0*VW + vc0
v_cmp_lt_u32 s[52:53], v4, s[sgprSizeI]            // coord0 < size0
v_cmp_lt_u32 s[56:57], v1, s[sgprSizeJ]            // coord1 < size1
s_and_b64 s[56:57], s[52:53], s[56:57]             // in0 && in1
_v_add_lshl_u32 v145, v2, v4, 0x1                  // scaleToBpe: accumulate d0 lower and *= bpe into Cin addr
v_cndmask_b32 v145, -1, v145, s[56:57]             // LDC clip if OOB. offset
_buffer_load_d16_b16 v146, v145, s[sgprSrdC:sgprSrdC+3], 0, offen offset:0,  sc0 sc1 // load C for beta calc
_v_add_lshl_u32 v145, v3, v4, 0x1                  // scaleToBpe: accumulate d0 lower and *= bpe into Cin addr
v_cndmask_b32 v145, -1, v145, s[56:57]             // LDD clip if OOB. offset
/* (d1,vc1,d0,vc0)=(5,1,0,0) */
_v_add_co_u32 v1, vcc, v1, 1                       // coord1.1: coord1Vgpr += d1*sg1*VW + vc1

/* Fix for UseInitialStridesCD, emitAddressSetupCode */
_v_add_u32 v2, v2, s[sgprStrideC1J]                // ROWINC- Move cinRowPtr to next row
_v_add_u32 v3, v3, s[sgprStrideD1J]                // Move coutRowPtr to next row
v_cmp_lt_u32 s[52:53], v0, s[sgprSizeI]            // coord0 < size0
v_cmp_lt_u32 s[56:57], v1, s[sgprSizeJ]            // coord1 < size1
s_and_b64 s[56:57], s[52:53], s[56:57]             // in0 && in1
_v_add_lshl_u32 v148, v2, v0, 0x1                  // scaleToBpe: accumulate d0 lower and *= bpe into Cin addr
v_cndmask_b32 v148, -1, v148, s[56:57]             // LDC clip if OOB. offset
_buffer_load_d16_b16 v149, v148, s[sgprSrdC:sgprSrdC+3], 0, offen offset:0,  sc0 sc1 // load C for beta calc
_v_add_lshl_u32 v148, v3, v0, 0x1                  // scaleToBpe: accumulate d0 lower and *= bpe into Cin addr
v_cndmask_b32 v148, -1, v148, s[56:57]             // LDD clip if OOB. offset
/* (d1,vc1,d0,vc0)=(5,1,1,0) */
_v_add_co_u32 v4, vcc, v0, 32                      // coord0.1: coord0 += d0*sg0*VW + vc0
v_cmp_lt_u32 s[52:53], v4, s[sgprSizeI]            // coord0 < size0
v_cmp_lt_u32 s[56:57], v1, s[sgprSizeJ]            // coord1 < size1
s_and_b64 s[56:57], s[52:53], s[56:57]             // in0 && in1
_v_add_lshl_u32 v151, v2, v4, 0x1                  // scaleToBpe: accumulate d0 lower and *= bpe into Cin addr
v_cndmask_b32 v151, -1, v151, s[56:57]             // LDC clip if OOB. offset
_buffer_load_d16_b16 v152, v151, s[sgprSrdC:sgprSrdC+3], 0, offen offset:0,  sc0 sc1 // load C for beta calc
_v_add_lshl_u32 v151, v3, v4, 0x1                  // scaleToBpe: accumulate d0 lower and *= bpe into Cin addr
v_cndmask_b32 v151, -1, v151, s[56:57]             // LDD clip if OOB. offset
/* (d1,vc1,d0,vc0)=(5,1,2,0) */
_v_add_co_u32 v4, vcc, v0, 64                      // coord0.1: coord0 += d0*sg0*VW + vc0
v_cmp_lt_u32 s[52:53], v4, s[sgprSizeI]            // coord0 < size0
v_cmp_lt_u32 s[56:57], v1, s[sgprSizeJ]            // coord1 < size1
s_and_b64 s[56:57], s[52:53], s[56:57]             // in0 && in1
_v_add_lshl_u32 v154, v2, v4, 0x1                  // scaleToBpe: accumulate d0 lower and *= bpe into Cin addr
v_cndmask_b32 v154, -1, v154, s[56:57]             // LDC clip if OOB. offset
_buffer_load_d16_b16 v155, v154, s[sgprSrdC:sgprSrdC+3], 0, offen offset:0,  sc0 sc1 // load C for beta calc
_v_add_lshl_u32 v154, v3, v4, 0x1                  // scaleToBpe: accumulate d0 lower and *= bpe into Cin addr
v_cndmask_b32 v154, -1, v154, s[56:57]             // LDD clip if OOB. offset
/* (d1,vc1,d0,vc0)=(5,1,3,0) */
s_mov_b32 s52, 96                                  // coordOffset0 d0=3 vc0=0
_v_add_co_u32 v4, vcc, v0, s52                     // coord0.2: coord0 += d0*sg0*VW + vc0
v_cmp_lt_u32 s[52:53], v4, s[sgprSizeI]            // coord0 < size0
v_cmp_lt_u32 s[56:57], v1, s[sgprSizeJ]            // coord1 < size1
s_and_b64 s[56:57], s[52:53], s[56:57]             // in0 && in1
_v_add_lshl_u32 v157, v2, v4, 0x1                  // scaleToBpe: accumulate d0 lower and *= bpe into Cin addr
v_cndmask_b32 v157, -1, v157, s[56:57]             // LDC clip if OOB. offset
_buffer_load_d16_b16 v158, v157, s[sgprSrdC:sgprSrdC+3], 0, offen offset:0,  sc0 sc1 // load C for beta calc
_v_add_lshl_u32 v157, v3, v4, 0x1                  // scaleToBpe: accumulate d0 lower and *= bpe into Cin addr
v_cndmask_b32 v157, -1, v157, s[56:57]             // LDD clip if OOB. offset
/* (d1,vc1,d0,vc0)=(5,1,4,0) */
s_mov_b32 s52, 128                                 // coordOffset0 d0=4 vc0=0
_v_add_co_u32 v4, vcc, v0, s52                     // coord0.2: coord0 += d0*sg0*VW + vc0
v_cmp_lt_u32 s[52:53], v4, s[sgprSizeI]            // coord0 < size0
v_cmp_lt_u32 s[56:57], v1, s[sgprSizeJ]            // coord1 < size1
s_and_b64 s[56:57], s[52:53], s[56:57]             // in0 && in1
_v_add_lshl_u32 v160, v2, v4, 0x1                  // scaleToBpe: accumulate d0 lower and *= bpe into Cin addr
v_cndmask_b32 v160, -1, v160, s[56:57]             // LDC clip if OOB. offset
_buffer_load_d16_b16 v161, v160, s[sgprSrdC:sgprSrdC+3], 0, offen offset:0,  sc0 sc1 // load C for beta calc
_v_add_lshl_u32 v160, v3, v4, 0x1                  // scaleToBpe: accumulate d0 lower and *= bpe into Cin addr
v_cndmask_b32 v160, -1, v160, s[56:57]             // LDD clip if OOB. offset
/* (d1,vc1,d0,vc0)=(5,1,5,0) */
s_mov_b32 s52, 160                                 // coordOffset0 d0=5 vc0=0
_v_add_co_u32 v4, vcc, v0, s52                     // coord0.2: coord0 += d0*sg0*VW + vc0
v_cmp_lt_u32 s[52:53], v4, s[sgprSizeI]            // coord0 < size0
v_cmp_lt_u32 s[56:57], v1, s[sgprSizeJ]            // coord1 < size1
s_and_b64 s[56:57], s[52:53], s[56:57]             // in0 && in1
_v_add_lshl_u32 v163, v2, v4, 0x1                  // scaleToBpe: accumulate d0 lower and *= bpe into Cin addr
v_cndmask_b32 v163, -1, v163, s[56:57]             // LDC clip if OOB. offset
_buffer_load_d16_b16 v164, v163, s[sgprSrdC:sgprSrdC+3], 0, offen offset:0,  sc0 sc1 // load C for beta calc
_v_add_lshl_u32 v163, v3, v4, 0x1                  // scaleToBpe: accumulate d0 lower and *= bpe into Cin addr
v_cndmask_b32 v163, -1, v163, s[56:57]             // LDD clip if OOB. offset
/* (d1,vc1,d0,vc0)=(5,2,0,0) */
_v_add_co_u32 v1, vcc, v1, 1                       // coord1.1: coord1Vgpr += d1*sg1*VW + vc1

/* Fix for UseInitialStridesCD, emitAddressSetupCode */
_v_add_u32 v2, v2, s[sgprStrideC1J]                // ROWINC- Move cinRowPtr to next row
_v_add_u32 v3, v3, s[sgprStrideD1J]                // Move coutRowPtr to next row
v_cmp_lt_u32 s[52:53], v0, s[sgprSizeI]            // coord0 < size0
v_cmp_lt_u32 s[56:57], v1, s[sgprSizeJ]            // coord1 < size1
s_and_b64 s[56:57], s[52:53], s[56:57]             // in0 && in1
_v_add_lshl_u32 v166, v2, v0, 0x1                  // scaleToBpe: accumulate d0 lower and *= bpe into Cin addr
v_cndmask_b32 v166, -1, v166, s[56:57]             // LDC clip if OOB. offset
_buffer_load_d16_b16 v167, v166, s[sgprSrdC:sgprSrdC+3], 0, offen offset:0,  sc0 sc1 // load C for beta calc
_v_add_lshl_u32 v166, v3, v0, 0x1                  // scaleToBpe: accumulate d0 lower and *= bpe into Cin addr
v_cndmask_b32 v166, -1, v166, s[56:57]             // LDD clip if OOB. offset
/* (d1,vc1,d0,vc0)=(5,2,1,0) */
_v_add_co_u32 v4, vcc, v0, 32                      // coord0.1: coord0 += d0*sg0*VW + vc0
v_cmp_lt_u32 s[52:53], v4, s[sgprSizeI]            // coord0 < size0
v_cmp_lt_u32 s[56:57], v1, s[sgprSizeJ]            // coord1 < size1
s_and_b64 s[56:57], s[52:53], s[56:57]             // in0 && in1
_v_add_lshl_u32 v169, v2, v4, 0x1                  // scaleToBpe: accumulate d0 lower and *= bpe into Cin addr
v_cndmask_b32 v169, -1, v169, s[56:57]             // LDC clip if OOB. offset
_buffer_load_d16_b16 v170, v169, s[sgprSrdC:sgprSrdC+3], 0, offen offset:0,  sc0 sc1 // load C for beta calc
_v_add_lshl_u32 v169, v3, v4, 0x1                  // scaleToBpe: accumulate d0 lower and *= bpe into Cin addr
v_cndmask_b32 v169, -1, v169, s[56:57]             // LDD clip if OOB. offset
/* (d1,vc1,d0,vc0)=(5,2,2,0) */
_v_add_co_u32 v4, vcc, v0, 64                      // coord0.1: coord0 += d0*sg0*VW + vc0
v_cmp_lt_u32 s[52:53], v4, s[sgprSizeI]            // coord0 < size0
v_cmp_lt_u32 s[56:57], v1, s[sgprSizeJ]            // coord1 < size1
s_and_b64 s[56:57], s[52:53], s[56:57]             // in0 && in1
_v_add_lshl_u32 v175, v2, v4, 0x1                  // scaleToBpe: accumulate d0 lower and *= bpe into Cin addr
v_cndmask_b32 v175, -1, v175, s[56:57]             // LDC clip if OOB. offset
_buffer_load_d16_b16 v176, v175, s[sgprSrdC:sgprSrdC+3], 0, offen offset:0,  sc0 sc1 // load C for beta calc
_v_add_lshl_u32 v175, v3, v4, 0x1                  // scaleToBpe: accumulate d0 lower and *= bpe into Cin addr
v_cndmask_b32 v175, -1, v175, s[56:57]             // LDD clip if OOB. offset
/* (d1,vc1,d0,vc0)=(5,2,3,0) */
s_mov_b32 s52, 96                                  // coordOffset0 d0=3 vc0=0
_v_add_co_u32 v4, vcc, v0, s52                     // coord0.2: coord0 += d0*sg0*VW + vc0
v_cmp_lt_u32 s[52:53], v4, s[sgprSizeI]            // coord0 < size0
v_cmp_lt_u32 s[56:57], v1, s[sgprSizeJ]            // coord1 < size1
s_and_b64 s[56:57], s[52:53], s[56:57]             // in0 && in1
_v_add_lshl_u32 v178, v2, v4, 0x1                  // scaleToBpe: accumulate d0 lower and *= bpe into Cin addr
v_cndmask_b32 v178, -1, v178, s[56:57]             // LDC clip if OOB. offset
_buffer_load_d16_b16 v179, v178, s[sgprSrdC:sgprSrdC+3], 0, offen offset:0,  sc0 sc1 // load C for beta calc
_v_add_lshl_u32 v178, v3, v4, 0x1                  // scaleToBpe: accumulate d0 lower and *= bpe into Cin addr
v_cndmask_b32 v178, -1, v178, s[56:57]             // LDD clip if OOB. offset
/* (d1,vc1,d0,vc0)=(5,2,4,0) */
s_mov_b32 s52, 128                                 // coordOffset0 d0=4 vc0=0
_v_add_co_u32 v4, vcc, v0, s52                     // coord0.2: coord0 += d0*sg0*VW + vc0
v_cmp_lt_u32 s[52:53], v4, s[sgprSizeI]            // coord0 < size0
v_cmp_lt_u32 s[56:57], v1, s[sgprSizeJ]            // coord1 < size1
s_and_b64 s[56:57], s[52:53], s[56:57]             // in0 && in1
_v_add_lshl_u32 v181, v2, v4, 0x1                  // scaleToBpe: accumulate d0 lower and *= bpe into Cin addr
v_cndmask_b32 v181, -1, v181, s[56:57]             // LDC clip if OOB. offset
_buffer_load_d16_b16 v182, v181, s[sgprSrdC:sgprSrdC+3], 0, offen offset:0,  sc0 sc1 // load C for beta calc
_v_add_lshl_u32 v181, v3, v4, 0x1                  // scaleToBpe: accumulate d0 lower and *= bpe into Cin addr
v_cndmask_b32 v181, -1, v181, s[56:57]             // LDD clip if OOB. offset
/* (d1,vc1,d0,vc0)=(5,2,5,0) */
s_mov_b32 s52, 160                                 // coordOffset0 d0=5 vc0=0
_v_add_co_u32 v4, vcc, v0, s52                     // coord0.2: coord0 += d0*sg0*VW + vc0
v_cmp_lt_u32 s[52:53], v4, s[sgprSizeI]            // coord0 < size0
v_cmp_lt_u32 s[56:57], v1, s[sgprSizeJ]            // coord1 < size1
s_and_b64 s[56:57], s[52:53], s[56:57]             // in0 && in1
_v_add_lshl_u32 v184, v2, v4, 0x1                  // scaleToBpe: accumulate d0 lower and *= bpe into Cin addr
v_cndmask_b32 v184, -1, v184, s[56:57]             // LDC clip if OOB. offset
_buffer_load_d16_b16 v185, v184, s[sgprSrdC:sgprSrdC+3], 0, offen offset:0,  sc0 sc1 // load C for beta calc
_v_add_lshl_u32 v184, v3, v4, 0x1                  // scaleToBpe: accumulate d0 lower and *= bpe into Cin addr
v_cndmask_b32 v184, -1, v184, s[56:57]             // LDD clip if OOB. offset
/* (d1,vc1,d0,vc0)=(5,3,0,0) */
_v_add_co_u32 v1, vcc, v1, 1                       // coord1.1: coord1Vgpr += d1*sg1*VW + vc1

/* Fix for UseInitialStridesCD, emitAddressSetupCode */
_v_add_u32 v2, v2, s[sgprStrideC1J]                // ROWINC- Move cinRowPtr to next row
_v_add_u32 v3, v3, s[sgprStrideD1J]                // Move coutRowPtr to next row
v_cmp_lt_u32 s[52:53], v0, s[sgprSizeI]            // coord0 < size0
v_cmp_lt_u32 s[56:57], v1, s[sgprSizeJ]            // coord1 < size1
s_and_b64 s[56:57], s[52:53], s[56:57]             // in0 && in1
_v_add_lshl_u32 v187, v2, v0, 0x1                  // scaleToBpe: accumulate d0 lower and *= bpe into Cin addr
v_cndmask_b32 v187, -1, v187, s[56:57]             // LDC clip if OOB. offset
_buffer_load_d16_b16 v188, v187, s[sgprSrdC:sgprSrdC+3], 0, offen offset:0,  sc0 sc1 // load C for beta calc
_v_add_lshl_u32 v187, v3, v0, 0x1                  // scaleToBpe: accumulate d0 lower and *= bpe into Cin addr
v_cndmask_b32 v187, -1, v187, s[56:57]             // LDD clip if OOB. offset
/* (d1,vc1,d0,vc0)=(5,3,1,0) */
_v_add_co_u32 v4, vcc, v0, 32                      // coord0.1: coord0 += d0*sg0*VW + vc0
v_cmp_lt_u32 s[52:53], v4, s[sgprSizeI]            // coord0 < size0
v_cmp_lt_u32 s[56:57], v1, s[sgprSizeJ]            // coord1 < size1
s_and_b64 s[56:57], s[52:53], s[56:57]             // in0 && in1
_v_add_lshl_u32 v190, v2, v4, 0x1                  // scaleToBpe: accumulate d0 lower and *= bpe into Cin addr
v_cndmask_b32 v190, -1, v190, s[56:57]             // LDC clip if OOB. offset
_buffer_load_d16_b16 v191, v190, s[sgprSrdC:sgprSrdC+3], 0, offen offset:0,  sc0 sc1 // load C for beta calc
_v_add_lshl_u32 v190, v3, v4, 0x1                  // scaleToBpe: accumulate d0 lower and *= bpe into Cin addr
v_cndmask_b32 v190, -1, v190, s[56:57]             // LDD clip if OOB. offset
/* (d1,vc1,d0,vc0)=(5,3,2,0) */
_v_add_co_u32 v4, vcc, v0, 64                      // coord0.1: coord0 += d0*sg0*VW + vc0
v_cmp_lt_u32 s[52:53], v4, s[sgprSizeI]            // coord0 < size0
v_cmp_lt_u32 s[56:57], v1, s[sgprSizeJ]            // coord1 < size1
s_and_b64 s[56:57], s[52:53], s[56:57]             // in0 && in1
_v_add_lshl_u32 v193, v2, v4, 0x1                  // scaleToBpe: accumulate d0 lower and *= bpe into Cin addr
v_cndmask_b32 v193, -1, v193, s[56:57]             // LDC clip if OOB. offset
_buffer_load_d16_b16 v194, v193, s[sgprSrdC:sgprSrdC+3], 0, offen offset:0,  sc0 sc1 // load C for beta calc
_v_add_lshl_u32 v193, v3, v4, 0x1                  // scaleToBpe: accumulate d0 lower and *= bpe into Cin addr
v_cndmask_b32 v193, -1, v193, s[56:57]             // LDD clip if OOB. offset
/* (d1,vc1,d0,vc0)=(5,3,3,0) */
s_mov_b32 s52, 96                                  // coordOffset0 d0=3 vc0=0
_v_add_co_u32 v4, vcc, v0, s52                     // coord0.2: coord0 += d0*sg0*VW + vc0
v_cmp_lt_u32 s[52:53], v4, s[sgprSizeI]            // coord0 < size0
v_cmp_lt_u32 s[56:57], v1, s[sgprSizeJ]            // coord1 < size1
s_and_b64 s[56:57], s[52:53], s[56:57]             // in0 && in1
_v_add_lshl_u32 v196, v2, v4, 0x1                  // scaleToBpe: accumulate d0 lower and *= bpe into Cin addr
v_cndmask_b32 v196, -1, v196, s[56:57]             // LDC clip if OOB. offset
_buffer_load_d16_b16 v197, v196, s[sgprSrdC:sgprSrdC+3], 0, offen offset:0,  sc0 sc1 // load C for beta calc
_v_add_lshl_u32 v196, v3, v4, 0x1                  // scaleToBpe: accumulate d0 lower and *= bpe into Cin addr
v_cndmask_b32 v196, -1, v196, s[56:57]             // LDD clip if OOB. offset
/* (d1,vc1,d0,vc0)=(5,3,4,0) */
s_mov_b32 s52, 128                                 // coordOffset0 d0=4 vc0=0
_v_add_co_u32 v4, vcc, v0, s52                     // coord0.2: coord0 += d0*sg0*VW + vc0
v_cmp_lt_u32 s[52:53], v4, s[sgprSizeI]            // coord0 < size0
v_cmp_lt_u32 s[56:57], v1, s[sgprSizeJ]            // coord1 < size1
s_and_b64 s[56:57], s[52:53], s[56:57]             // in0 && in1
_v_add_lshl_u32 v199, v2, v4, 0x1                  // scaleToBpe: accumulate d0 lower and *= bpe into Cin addr
v_cndmask_b32 v199, -1, v199, s[56:57]             // LDC clip if OOB. offset
_buffer_load_d16_b16 v200, v199, s[sgprSrdC:sgprSrdC+3], 0, offen offset:0,  sc0 sc1 // load C for beta calc
_v_add_lshl_u32 v199, v3, v4, 0x1                  // scaleToBpe: accumulate d0 lower and *= bpe into Cin addr
v_cndmask_b32 v199, -1, v199, s[56:57]             // LDD clip if OOB. offset
/* (d1,vc1,d0,vc0)=(5,3,5,0) */
s_mov_b32 s52, 160                                 // coordOffset0 d0=5 vc0=0
_v_add_co_u32 v4, vcc, v0, s52                     // coord0.2: coord0 += d0*sg0*VW + vc0
v_cmp_lt_u32 s[52:53], v4, s[sgprSizeI]            // coord0 < size0
v_cmp_lt_u32 s[56:57], v1, s[sgprSizeJ]            // coord1 < size1
s_and_b64 s[56:57], s[52:53], s[56:57]             // in0 && in1
_v_add_lshl_u32 v202, v2, v4, 0x1                  // scaleToBpe: accumulate d0 lower and *= bpe into Cin addr
v_cndmask_b32 v202, -1, v202, s[56:57]             // LDC clip if OOB. offset
_buffer_load_d16_b16 v203, v202, s[sgprSrdC:sgprSrdC+3], 0, offen offset:0,  sc0 sc1 // load C for beta calc
_v_add_lshl_u32 v202, v3, v4, 0x1                  // scaleToBpe: accumulate d0 lower and *= bpe into Cin addr
v_cndmask_b32 v202, -1, v202, s[56:57]             // LDD clip if OOB. offset
/* (d1,vc1,d0,vc0)=(6,0,0,0) */
_v_add_co_u32 v1, vcc, v1, 29                      // coord1.1: coord1Vgpr += d1*sg1*VW + vc1

/* Fix for UseInitialStridesCD, emitAddressSetupCode */
s_mul_i32 s52, s[sgprStrideC1J], 29                // scale stride
_v_add_u32 v2, v2, s52                             // ROWINC- Move cinRowPtr to next row
s_mul_i32 s52, s[sgprStrideD1J], 29                // scale stride
_v_add_u32 v3, v3, s52                             // Move coutRowPtr to next row
v_cmp_lt_u32 s[52:53], v0, s[sgprSizeI]            // coord0 < size0
v_cmp_lt_u32 s[56:57], v1, s[sgprSizeJ]            // coord1 < size1
s_and_b64 s[56:57], s[52:53], s[56:57]             // in0 && in1
_v_add_lshl_u32 v205, v2, v0, 0x1                  // scaleToBpe: accumulate d0 lower and *= bpe into Cin addr
v_cndmask_b32 v205, -1, v205, s[56:57]             // LDC clip if OOB. offset
_buffer_load_d16_b16 v206, v205, s[sgprSrdC:sgprSrdC+3], 0, offen offset:0,  sc0 sc1 // load C for beta calc
_v_add_lshl_u32 v205, v3, v0, 0x1                  // scaleToBpe: accumulate d0 lower and *= bpe into Cin addr
v_cndmask_b32 v205, -1, v205, s[56:57]             // LDD clip if OOB. offset
/* (d1,vc1,d0,vc0)=(6,0,1,0) */
_v_add_co_u32 v4, vcc, v0, 32                      // coord0.1: coord0 += d0*sg0*VW + vc0
v_cmp_lt_u32 s[52:53], v4, s[sgprSizeI]            // coord0 < size0
v_cmp_lt_u32 s[56:57], v1, s[sgprSizeJ]            // coord1 < size1
s_and_b64 s[56:57], s[52:53], s[56:57]             // in0 && in1
_v_add_lshl_u32 v208, v2, v4, 0x1                  // scaleToBpe: accumulate d0 lower and *= bpe into Cin addr
v_cndmask_b32 v208, -1, v208, s[56:57]             // LDC clip if OOB. offset
_buffer_load_d16_b16 v209, v208, s[sgprSrdC:sgprSrdC+3], 0, offen offset:0,  sc0 sc1 // load C for beta calc
_v_add_lshl_u32 v208, v3, v4, 0x1                  // scaleToBpe: accumulate d0 lower and *= bpe into Cin addr
v_cndmask_b32 v208, -1, v208, s[56:57]             // LDD clip if OOB. offset
/* (d1,vc1,d0,vc0)=(6,0,2,0) */
_v_add_co_u32 v4, vcc, v0, 64                      // coord0.1: coord0 += d0*sg0*VW + vc0
v_cmp_lt_u32 s[52:53], v4, s[sgprSizeI]            // coord0 < size0
v_cmp_lt_u32 s[56:57], v1, s[sgprSizeJ]            // coord1 < size1
s_and_b64 s[56:57], s[52:53], s[56:57]             // in0 && in1
_v_add_lshl_u32 v211, v2, v4, 0x1                  // scaleToBpe: accumulate d0 lower and *= bpe into Cin addr
v_cndmask_b32 v211, -1, v211, s[56:57]             // LDC clip if OOB. offset
_buffer_load_d16_b16 v212, v211, s[sgprSrdC:sgprSrdC+3], 0, offen offset:0,  sc0 sc1 // load C for beta calc
_v_add_lshl_u32 v211, v3, v4, 0x1                  // scaleToBpe: accumulate d0 lower and *= bpe into Cin addr
v_cndmask_b32 v211, -1, v211, s[56:57]             // LDD clip if OOB. offset
/* (d1,vc1,d0,vc0)=(6,0,3,0) */
s_mov_b32 s52, 96                                  // coordOffset0 d0=3 vc0=0
_v_add_co_u32 v4, vcc, v0, s52                     // coord0.2: coord0 += d0*sg0*VW + vc0
v_cmp_lt_u32 s[52:53], v4, s[sgprSizeI]            // coord0 < size0
v_cmp_lt_u32 s[56:57], v1, s[sgprSizeJ]            // coord1 < size1
s_and_b64 s[56:57], s[52:53], s[56:57]             // in0 && in1
_v_add_lshl_u32 v214, v2, v4, 0x1                  // scaleToBpe: accumulate d0 lower and *= bpe into Cin addr
v_cndmask_b32 v214, -1, v214, s[56:57]             // LDC clip if OOB. offset
_buffer_load_d16_b16 v215, v214, s[sgprSrdC:sgprSrdC+3], 0, offen offset:0,  sc0 sc1 // load C for beta calc
_v_add_lshl_u32 v214, v3, v4, 0x1                  // scaleToBpe: accumulate d0 lower and *= bpe into Cin addr
v_cndmask_b32 v214, -1, v214, s[56:57]             // LDD clip if OOB. offset
/* (d1,vc1,d0,vc0)=(6,0,4,0) */
s_mov_b32 s52, 128                                 // coordOffset0 d0=4 vc0=0
_v_add_co_u32 v4, vcc, v0, s52                     // coord0.2: coord0 += d0*sg0*VW + vc0
v_cmp_lt_u32 s[52:53], v4, s[sgprSizeI]            // coord0 < size0
v_cmp_lt_u32 s[56:57], v1, s[sgprSizeJ]            // coord1 < size1
s_and_b64 s[56:57], s[52:53], s[56:57]             // in0 && in1
_v_add_lshl_u32 v217, v2, v4, 0x1                  // scaleToBpe: accumulate d0 lower and *= bpe into Cin addr
v_cndmask_b32 v217, -1, v217, s[56:57]             // LDC clip if OOB. offset
_buffer_load_d16_b16 v218, v217, s[sgprSrdC:sgprSrdC+3], 0, offen offset:0,  sc0 sc1 // load C for beta calc
_v_add_lshl_u32 v217, v3, v4, 0x1                  // scaleToBpe: accumulate d0 lower and *= bpe into Cin addr
v_cndmask_b32 v217, -1, v217, s[56:57]             // LDD clip if OOB. offset
/* (d1,vc1,d0,vc0)=(6,0,5,0) */
s_mov_b32 s52, 160                                 // coordOffset0 d0=5 vc0=0
_v_add_co_u32 v4, vcc, v0, s52                     // coord0.2: coord0 += d0*sg0*VW + vc0
v_cmp_lt_u32 s[52:53], v4, s[sgprSizeI]            // coord0 < size0
v_cmp_lt_u32 s[56:57], v1, s[sgprSizeJ]            // coord1 < size1
s_and_b64 s[56:57], s[52:53], s[56:57]             // in0 && in1
_v_add_lshl_u32 v220, v2, v4, 0x1                  // scaleToBpe: accumulate d0 lower and *= bpe into Cin addr
v_cndmask_b32 v220, -1, v220, s[56:57]             // LDC clip if OOB. offset
_buffer_load_d16_b16 v221, v220, s[sgprSrdC:sgprSrdC+3], 0, offen offset:0,  sc0 sc1 // load C for beta calc
_v_add_lshl_u32 v220, v3, v4, 0x1                  // scaleToBpe: accumulate d0 lower and *= bpe into Cin addr
v_cndmask_b32 v220, -1, v220, s[56:57]             // LDD clip if OOB. offset
/* (d1,vc1,d0,vc0)=(6,1,0,0) */
_v_add_co_u32 v1, vcc, v1, 1                       // coord1.1: coord1Vgpr += d1*sg1*VW + vc1

/* Fix for UseInitialStridesCD, emitAddressSetupCode */
_v_add_u32 v2, v2, s[sgprStrideC1J]                // ROWINC- Move cinRowPtr to next row
_v_add_u32 v3, v3, s[sgprStrideD1J]                // Move coutRowPtr to next row
v_cmp_lt_u32 s[52:53], v0, s[sgprSizeI]            // coord0 < size0
v_cmp_lt_u32 s[56:57], v1, s[sgprSizeJ]            // coord1 < size1
s_and_b64 s[56:57], s[52:53], s[56:57]             // in0 && in1
_v_add_lshl_u32 v223, v2, v0, 0x1                  // scaleToBpe: accumulate d0 lower and *= bpe into Cin addr
v_cndmask_b32 v223, -1, v223, s[56:57]             // LDC clip if OOB. offset
_buffer_load_d16_b16 v224, v223, s[sgprSrdC:sgprSrdC+3], 0, offen offset:0,  sc0 sc1 // load C for beta calc
_v_add_lshl_u32 v223, v3, v0, 0x1                  // scaleToBpe: accumulate d0 lower and *= bpe into Cin addr
v_cndmask_b32 v223, -1, v223, s[56:57]             // LDD clip if OOB. offset
/* (d1,vc1,d0,vc0)=(6,1,1,0) */
_v_add_co_u32 v4, vcc, v0, 32                      // coord0.1: coord0 += d0*sg0*VW + vc0
v_cmp_lt_u32 s[52:53], v4, s[sgprSizeI]            // coord0 < size0
v_cmp_lt_u32 s[56:57], v1, s[sgprSizeJ]            // coord1 < size1
s_and_b64 s[56:57], s[52:53], s[56:57]             // in0 && in1
_v_add_lshl_u32 v226, v2, v4, 0x1                  // scaleToBpe: accumulate d0 lower and *= bpe into Cin addr
v_cndmask_b32 v226, -1, v226, s[56:57]             // LDC clip if OOB. offset
_buffer_load_d16_b16 v227, v226, s[sgprSrdC:sgprSrdC+3], 0, offen offset:0,  sc0 sc1 // load C for beta calc
_v_add_lshl_u32 v226, v3, v4, 0x1                  // scaleToBpe: accumulate d0 lower and *= bpe into Cin addr
v_cndmask_b32 v226, -1, v226, s[56:57]             // LDD clip if OOB. offset
/* (d1,vc1,d0,vc0)=(6,1,2,0) */
_v_add_co_u32 v4, vcc, v0, 64                      // coord0.1: coord0 += d0*sg0*VW + vc0
v_cmp_lt_u32 s[52:53], v4, s[sgprSizeI]            // coord0 < size0
v_cmp_lt_u32 s[56:57], v1, s[sgprSizeJ]            // coord1 < size1
s_and_b64 s[56:57], s[52:53], s[56:57]             // in0 && in1
_v_add_lshl_u32 v229, v2, v4, 0x1                  // scaleToBpe: accumulate d0 lower and *= bpe into Cin addr
v_cndmask_b32 v229, -1, v229, s[56:57]             // LDC clip if OOB. offset
_buffer_load_d16_b16 v230, v229, s[sgprSrdC:sgprSrdC+3], 0, offen offset:0,  sc0 sc1 // load C for beta calc
_v_add_lshl_u32 v229, v3, v4, 0x1                  // scaleToBpe: accumulate d0 lower and *= bpe into Cin addr
v_cndmask_b32 v229, -1, v229, s[56:57]             // LDD clip if OOB. offset
/* (d1,vc1,d0,vc0)=(6,1,3,0) */
s_mov_b32 s52, 96                                  // coordOffset0 d0=3 vc0=0
_v_add_co_u32 v4, vcc, v0, s52                     // coord0.2: coord0 += d0*sg0*VW + vc0
v_cmp_lt_u32 s[52:53], v4, s[sgprSizeI]            // coord0 < size0
v_cmp_lt_u32 s[56:57], v1, s[sgprSizeJ]            // coord1 < size1
s_and_b64 s[56:57], s[52:53], s[56:57]             // in0 && in1
_v_add_lshl_u32 v232, v2, v4, 0x1                  // scaleToBpe: accumulate d0 lower and *= bpe into Cin addr
v_cndmask_b32 v232, -1, v232, s[56:57]             // LDC clip if OOB. offset
_buffer_load_d16_b16 v233, v232, s[sgprSrdC:sgprSrdC+3], 0, offen offset:0,  sc0 sc1 // load C for beta calc
_v_add_lshl_u32 v232, v3, v4, 0x1                  // scaleToBpe: accumulate d0 lower and *= bpe into Cin addr
v_cndmask_b32 v232, -1, v232, s[56:57]             // LDD clip if OOB. offset
/* (d1,vc1,d0,vc0)=(6,1,4,0) */
s_mov_b32 s52, 128                                 // coordOffset0 d0=4 vc0=0
_v_add_co_u32 v4, vcc, v0, s52                     // coord0.2: coord0 += d0*sg0*VW + vc0
v_cmp_lt_u32 s[52:53], v4, s[sgprSizeI]            // coord0 < size0
v_cmp_lt_u32 s[56:57], v1, s[sgprSizeJ]            // coord1 < size1
s_and_b64 s[56:57], s[52:53], s[56:57]             // in0 && in1
_v_add_lshl_u32 v235, v2, v4, 0x1                  // scaleToBpe: accumulate d0 lower and *= bpe into Cin addr
v_cndmask_b32 v235, -1, v235, s[56:57]             // LDC clip if OOB. offset
_buffer_load_d16_b16 v236, v235, s[sgprSrdC:sgprSrdC+3], 0, offen offset:0,  sc0 sc1 // load C for beta calc
_v_add_lshl_u32 v235, v3, v4, 0x1                  // scaleToBpe: accumulate d0 lower and *= bpe into Cin addr
v_cndmask_b32 v235, -1, v235, s[56:57]             // LDD clip if OOB. offset
/* (d1,vc1,d0,vc0)=(6,1,5,0) */
s_mov_b32 s52, 160                                 // coordOffset0 d0=5 vc0=0
_v_add_co_u32 v4, vcc, v0, s52                     // coord0.2: coord0 += d0*sg0*VW + vc0
v_cmp_lt_u32 s[52:53], v4, s[sgprSizeI]            // coord0 < size0
v_cmp_lt_u32 s[56:57], v1, s[sgprSizeJ]            // coord1 < size1
s_and_b64 s[56:57], s[52:53], s[56:57]             // in0 && in1
_v_add_lshl_u32 v238, v2, v4, 0x1                  // scaleToBpe: accumulate d0 lower and *= bpe into Cin addr
v_cndmask_b32 v238, -1, v238, s[56:57]             // LDC clip if OOB. offset
_buffer_load_d16_b16 v239, v238, s[sgprSrdC:sgprSrdC+3], 0, offen offset:0,  sc0 sc1 // load C for beta calc
_v_add_lshl_u32 v238, v3, v4, 0x1                  // scaleToBpe: accumulate d0 lower and *= bpe into Cin addr
v_cndmask_b32 v238, -1, v238, s[56:57]             // LDD clip if OOB. offset
/* (d1,vc1,d0,vc0)=(6,2,0,0) */
_v_add_co_u32 v1, vcc, v1, 1                       // coord1.1: coord1Vgpr += d1*sg1*VW + vc1

/* Fix for UseInitialStridesCD, emitAddressSetupCode */
_v_add_u32 v2, v2, s[sgprStrideC1J]                // ROWINC- Move cinRowPtr to next row
_v_add_u32 v3, v3, s[sgprStrideD1J]                // Move coutRowPtr to next row
v_cmp_lt_u32 s[52:53], v0, s[sgprSizeI]            // coord0 < size0
v_cmp_lt_u32 s[56:57], v1, s[sgprSizeJ]            // coord1 < size1
s_and_b64 s[56:57], s[52:53], s[56:57]             // in0 && in1
_v_add_lshl_u32 v241, v2, v0, 0x1                  // scaleToBpe: accumulate d0 lower and *= bpe into Cin addr
v_cndmask_b32 v241, -1, v241, s[56:57]             // LDC clip if OOB. offset
_buffer_load_d16_b16 v242, v241, s[sgprSrdC:sgprSrdC+3], 0, offen offset:0,  sc0 sc1 // load C for beta calc
_v_add_lshl_u32 v241, v3, v0, 0x1                  // scaleToBpe: accumulate d0 lower and *= bpe into Cin addr
v_cndmask_b32 v241, -1, v241, s[56:57]             // LDD clip if OOB. offset
/* (d1,vc1,d0,vc0)=(6,2,1,0) */
_v_add_co_u32 v4, vcc, v0, 32                      // coord0.1: coord0 += d0*sg0*VW + vc0
v_cmp_lt_u32 s[52:53], v4, s[sgprSizeI]            // coord0 < size0
v_cmp_lt_u32 s[56:57], v1, s[sgprSizeJ]            // coord1 < size1
s_and_b64 s[56:57], s[52:53], s[56:57]             // in0 && in1
_v_add_lshl_u32 v244, v2, v4, 0x1                  // scaleToBpe: accumulate d0 lower and *= bpe into Cin addr
v_cndmask_b32 v244, -1, v244, s[56:57]             // LDC clip if OOB. offset
_buffer_load_d16_b16 v245, v244, s[sgprSrdC:sgprSrdC+3], 0, offen offset:0,  sc0 sc1 // load C for beta calc
_v_add_lshl_u32 v244, v3, v4, 0x1                  // scaleToBpe: accumulate d0 lower and *= bpe into Cin addr
v_cndmask_b32 v244, -1, v244, s[56:57]             // LDD clip if OOB. offset
/* (d1,vc1,d0,vc0)=(6,2,2,0) */
_v_add_co_u32 v4, vcc, v0, 64                      // coord0.1: coord0 += d0*sg0*VW + vc0
v_cmp_lt_u32 s[52:53], v4, s[sgprSizeI]            // coord0 < size0
v_cmp_lt_u32 s[56:57], v1, s[sgprSizeJ]            // coord1 < size1
s_and_b64 s[56:57], s[52:53], s[56:57]             // in0 && in1
_v_add_lshl_u32 v247, v2, v4, 0x1                  // scaleToBpe: accumulate d0 lower and *= bpe into Cin addr
v_cndmask_b32 v247, -1, v247, s[56:57]             // LDC clip if OOB. offset
_buffer_load_d16_b16 v248, v247, s[sgprSrdC:sgprSrdC+3], 0, offen offset:0,  sc0 sc1 // load C for beta calc
_v_add_lshl_u32 v247, v3, v4, 0x1                  // scaleToBpe: accumulate d0 lower and *= bpe into Cin addr
v_cndmask_b32 v247, -1, v247, s[56:57]             // LDD clip if OOB. offset
/* (d1,vc1,d0,vc0)=(6,2,3,0) */
s_mov_b32 s52, 96                                  // coordOffset0 d0=3 vc0=0
_v_add_co_u32 v4, vcc, v0, s52                     // coord0.2: coord0 += d0*sg0*VW + vc0
v_cmp_lt_u32 s[52:53], v4, s[sgprSizeI]            // coord0 < size0
v_cmp_lt_u32 s[56:57], v1, s[sgprSizeJ]            // coord1 < size1
s_and_b64 s[56:57], s[52:53], s[56:57]             // in0 && in1
_v_add_lshl_u32 v250, v2, v4, 0x1                  // scaleToBpe: accumulate d0 lower and *= bpe into Cin addr
v_cndmask_b32 v250, -1, v250, s[56:57]             // LDC clip if OOB. offset
_buffer_load_d16_b16 v251, v250, s[sgprSrdC:sgprSrdC+3], 0, offen offset:0,  sc0 sc1 // load C for beta calc
_v_add_lshl_u32 v250, v3, v4, 0x1                  // scaleToBpe: accumulate d0 lower and *= bpe into Cin addr
v_cndmask_b32 v250, -1, v250, s[56:57]             // LDD clip if OOB. offset
s_sleep 5 // optimization: sync and wait
s_barrier
v_accvgpr_read_b32 v[vgprValuC+12], acc81 // copy acc to vreg[80]
v_accvgpr_read_b32 v[vgprValuC+15], acc85 // copy acc to vreg[81]
v_accvgpr_read_b32 v[vgprValuC+18], acc89 // copy acc to vreg[82]
v_accvgpr_read_b32 v[vgprValuC+21], acc93 // copy acc to vreg[83]
v_accvgpr_read_b32 v[vgprValuC+24], acc74 // copy acc to vreg[84]
v_accvgpr_read_b32 v[vgprValuC+27], acc78 // copy acc to vreg[85]
v_accvgpr_read_b32 v[vgprValuC+30], acc82 // copy acc to vreg[86]
v_accvgpr_read_b32 v[vgprValuC+33], acc86 // copy acc to vreg[87]
v_accvgpr_read_b32 v[vgprValuC+36], acc90 // copy acc to vreg[88]
v_accvgpr_read_b32 v[vgprValuC+39], acc94 // copy acc to vreg[89]
v_accvgpr_read_b32 v[vgprValuC+42], acc75 // copy acc to vreg[90]
v_accvgpr_read_b32 v[vgprValuC+45], acc79 // copy acc to vreg[91]
v_accvgpr_read_b32 v[vgprValuC+48], acc83 // copy acc to vreg[92]
v_accvgpr_read_b32 v[vgprValuC+51], acc87 // copy acc to vreg[93]
v_accvgpr_read_b32 v[vgprValuC+54], acc91 // copy acc to vreg[94]
v_accvgpr_read_b32 v[vgprValuC+57], acc95 // copy acc to vreg[95]
v_accvgpr_read_b32 v[vgprValuC+60], acc96 // copy acc to vreg[96]
v_accvgpr_read_b32 v[vgprValuC+63], acc100 // copy acc to vreg[97]
v_accvgpr_read_b32 v[vgprValuC+66], acc104 // copy acc to vreg[98]
v_accvgpr_read_b32 v[vgprValuC+69], acc108 // copy acc to vreg[99]
v_accvgpr_read_b32 v[vgprValuC+72], acc112 // copy acc to vreg[100]
v_accvgpr_read_b32 v[vgprValuC+75], acc116 // copy acc to vreg[101]
v_accvgpr_read_b32 v[vgprValuC+78], acc97 // copy acc to vreg[102]
v_accvgpr_read_b32 v[vgprValuC+81], acc101 // copy acc to vreg[103]
v_accvgpr_read_b32 v[vgprValuC+84], acc105 // copy acc to vreg[104]
v_accvgpr_read_b32 v[vgprValuC+87], acc109 // copy acc to vreg[105]
v_accvgpr_read_b32 v[vgprValuC+90], acc113 // copy acc to vreg[106]
v_accvgpr_read_b32 v[vgprValuC+93], acc117 // copy acc to vreg[107]
v_accvgpr_read_b32 v[vgprValuC+96], acc98 // copy acc to vreg[108]
v_accvgpr_read_b32 v[vgprValuC+99], acc102 // copy acc to vreg[109]
v_accvgpr_read_b32 v[vgprValuC+102], acc106 // copy acc to vreg[110]
v_accvgpr_read_b32 v[vgprValuC+105], acc110 // copy acc to vreg[111]
v_accvgpr_read_b32 v[vgprValuC+108], acc114 // copy acc to vreg[112]
v_accvgpr_read_b32 v[vgprValuC+111], acc118 // copy acc to vreg[113]
v_accvgpr_read_b32 v[vgprValuC+114], acc99 // copy acc to vreg[114]
v_accvgpr_read_b32 v[vgprValuC+117], acc103 // copy acc to vreg[115]
v_accvgpr_read_b32 v[vgprValuC+120], acc107 // copy acc to vreg[116]
v_accvgpr_read_b32 v[vgprValuC+123], acc111 // copy acc to vreg[117]
v_accvgpr_read_b32 v[vgprValuC+126], acc115 // copy acc to vreg[118]
v_accvgpr_read_b32 v[vgprValuC+129], acc119 // copy acc to vreg[119]
v_accvgpr_read_b32 v[vgprValuC+132], acc120 // copy acc to vreg[120]
v_accvgpr_read_b32 v[vgprValuC+135], acc124 // copy acc to vreg[121]
v_accvgpr_read_b32 v[vgprValuC+138], acc128 // copy acc to vreg[122]
v_accvgpr_read_b32 v[vgprValuC+141], acc132 // copy acc to vreg[123]
v_accvgpr_read_b32 v[vgprValuC+144], acc136 // copy acc to vreg[124]
v_accvgpr_read_b32 v[vgprValuC+147], acc140 // copy acc to vreg[125]
v_accvgpr_read_b32 v[vgprValuC+150], acc121 // copy acc to vreg[126]
v_accvgpr_read_b32 v[vgprValuC+153], acc125 // copy acc to vreg[127]
v_accvgpr_read_b32 v[vgprValuC+156], acc129 // copy acc to vreg[128]
v_accvgpr_read_b32 v[vgprValuC+159], acc133 // copy acc to vreg[129]
v_accvgpr_read_b32 v[vgprValuC+162], acc137 // copy acc to vreg[130]
v_accvgpr_read_b32 v[vgprValuC+165], acc141 // copy acc to vreg[131]
v_accvgpr_read_b32 v[vgprValuC+168], acc122 // copy acc to vreg[132]
v_accvgpr_read_b32 v[vgprValuC+171], acc126 // copy acc to vreg[133]
v_accvgpr_read_b32 v[vgprValuC+177], acc130 // copy acc to vreg[134]
v_accvgpr_read_b32 v[vgprValuC+180], acc134 // copy acc to vreg[135]
v_accvgpr_read_b32 v[vgprValuC+183], acc138 // copy acc to vreg[136]
v_accvgpr_read_b32 v[vgprValuC+186], acc142 // copy acc to vreg[137]
v_accvgpr_read_b32 v[vgprValuC+189], acc123 // copy acc to vreg[138]
v_accvgpr_read_b32 v[vgprValuC+192], acc127 // copy acc to vreg[139]
v_accvgpr_read_b32 v[vgprValuC+195], acc131 // copy acc to vreg[140]
v_accvgpr_read_b32 v[vgprValuC+198], acc135 // copy acc to vreg[141]
v_accvgpr_read_b32 v[vgprValuC+201], acc139 // copy acc to vreg[142]
v_accvgpr_read_b32 v[vgprValuC+204], acc143 // copy acc to vreg[143]
v_accvgpr_read_b32 v[vgprValuC+207], acc144 // copy acc to vreg[144]
v_accvgpr_read_b32 v[vgprValuC+210], acc148 // copy acc to vreg[145]
v_accvgpr_read_b32 v[vgprValuC+213], acc152 // copy acc to vreg[146]
v_accvgpr_read_b32 v[vgprValuC+216], acc156 // copy acc to vreg[147]
v_accvgpr_read_b32 v[vgprValuC+219], acc160 // copy acc to vreg[148]
v_accvgpr_read_b32 v[vgprValuC+222], acc164 // copy acc to vreg[149]
v_accvgpr_read_b32 v[vgprValuC+225], acc145 // copy acc to vreg[150]
v_accvgpr_read_b32 v[vgprValuC+228], acc149 // copy acc to vreg[151]
v_accvgpr_read_b32 v[vgprValuC+231], acc153 // copy acc to vreg[152]
v_accvgpr_read_b32 v[vgprValuC+234], acc157 // copy acc to vreg[153]
v_accvgpr_read_b32 v[vgprValuC+237], acc161 // copy acc to vreg[154]
v_accvgpr_read_b32 v[vgprValuC+240], acc165 // copy acc to vreg[155]
v_accvgpr_read_b32 v[vgprValuC+243], acc146 // copy acc to vreg[156]
v_accvgpr_read_b32 v[vgprValuC+246], acc150 // copy acc to vreg[157]
v_accvgpr_read_b32 v[vgprValuC+249], acc154 // copy acc to vreg[158]
v_accvgpr_read_b32 v[vgprValuC+252], acc158 // copy acc to vreg[159]
s_nop 1                                            // 2 wait states required before reading vgpr

/* rC *= alpha batchElements=[(3, 2, 1, 0), (3, 3, 1, 0), (3, 4, 1, 0), (3, 5, 1, 0), (3, 0, 2, 0), (3, 1, 2, 0), (3, 2, 2, 0), (3, 3, 2, 0), (3, 4, 2, 0), (3, 5, 2, 0), (3, 0, 3, 0), (3, 1, 3, 0), (3, 2, 3, 0), (3, 3, 3, 0), (3, 4, 3, 0), (3, 5, 3, 0), (4, 0, 0, 0), (4, 1, 0, 0), (4, 2, 0, 0), (4, 3, 0, 0), (4, 4, 0, 0), (4, 5, 0, 0), (4, 0, 1, 0), (4, 1, 1, 0), (4, 2, 1, 0), (4, 3, 1, 0), (4, 4, 1, 0), (4, 5, 1, 0), (4, 0, 2, 0), (4, 1, 2, 0), (4, 2, 2, 0), (4, 3, 2, 0), (4, 4, 2, 0), (4, 5, 2, 0), (4, 0, 3, 0), (4, 1, 3, 0), (4, 2, 3, 0), (4, 3, 3, 0), (4, 4, 3, 0), (4, 5, 3, 0), (5, 0, 0, 0), (5, 1, 0, 0), (5, 2, 0, 0), (5, 3, 0, 0), (5, 4, 0, 0), (5, 5, 0, 0), (5, 0, 1, 0), (5, 1, 1, 0), (5, 2, 1, 0), (5, 3, 1, 0), (5, 4, 1, 0), (5, 5, 1, 0), (5, 0, 2, 0), (5, 1, 2, 0), (5, 2, 2, 0), (5, 3, 2, 0), (5, 4, 2, 0), (5, 5, 2, 0), (5, 0, 3, 0), (5, 1, 3, 0), (5, 2, 3, 0), (5, 3, 3, 0), (5, 4, 3, 0), (5, 5, 3, 0), (6, 0, 0, 0), (6, 1, 0, 0), (6, 2, 0, 0), (6, 3, 0, 0), (6, 4, 0, 0), (6, 5, 0, 0), (6, 0, 1, 0), (6, 1, 1, 0), (6, 2, 1, 0), (6, 3, 1, 0), (6, 4, 1, 0), (6, 5, 1, 0), (6, 0, 2, 0), (6, 1, 2, 0), (6, 2, 2, 0), (6, 3, 2, 0)] */
v_mul_f32 v[vgprValuC+12], s[sgprAlpha], v[vgprValuC+12] // *= alpha
v_mul_f32 v[vgprValuC+15], s[sgprAlpha], v[vgprValuC+15] // *= alpha
	;; [unrolled: 1-line block ×80, first 2 shown]
s_waitcnt vmcnt(0)                                 // wait C

/* apply mask, calc new C and issue writes */
v_mov_b32 v7, 0xffff0000                           // mask for pack two bfloat16 element to 32bit
v_mov_b32 v8, 0x7fff0000                           // fp32 Nan
v_mov_b32 v9, 0x7fff                               // rounding bias for bfloat16
v_lshlrev_b32 v4, 16, v11                          // convert bf16 to fp32
_v_mac_f32 v[vgprValuC+12], v4, s[sgprBeta]        // finalSum = sum*alpha + C*beta
v_cmp_u_f32 s[52:53], v[vgprValuC+12], v[vgprValuC+12] // check Nan
v_bfe_u32 v6, v[vgprValuC+12], 16, 1               // Non-Nan case: store lsb of bf16
v_add3_u32 v6, v[vgprValuC+12], v6, v9             // Non-Nan case: add lsb and the increment for rounding
v_cndmask_b32 v[vgprValuC+12], v6, v8, s[52:53]    // 
v_lshrrev_b32 v[vgprValuC+12], 16, v[vgprValuC+12] // convert C to bf16
_buffer_store_b16 v12, v10, s[sgprSrdD:sgprSrdD+3], 0, offen, offset:0,  sc0 sc1 // store D
v_lshlrev_b32 v4, 16, v14                          // convert bf16 to fp32
_v_mac_f32 v[vgprValuC+15], v4, s[sgprBeta]        // finalSum = sum*alpha + C*beta
v_cmp_u_f32 s[52:53], v[vgprValuC+15], v[vgprValuC+15] // check Nan
v_bfe_u32 v6, v[vgprValuC+15], 16, 1               // Non-Nan case: store lsb of bf16
v_add3_u32 v6, v[vgprValuC+15], v6, v9             // Non-Nan case: add lsb and the increment for rounding
v_cndmask_b32 v[vgprValuC+15], v6, v8, s[52:53]    // 
v_lshrrev_b32 v[vgprValuC+15], 16, v[vgprValuC+15] // convert C to bf16
_buffer_store_b16 v15, v13, s[sgprSrdD:sgprSrdD+3], 0, offen, offset:0,  sc0 sc1 // store D
	;; [unrolled: 8-line block ×30, first 2 shown]
v_lshlrev_b32 v4, 16, v101                         // convert bf16 to fp32
_v_mac_f32 v[vgprValuC+102], v4, s[sgprBeta]       // finalSum = sum*alpha + C*beta
v_cmp_u_f32 s[52:53], v[vgprValuC+102], v[vgprValuC+102] // check Nan
v_bfe_u32 v6, v[vgprValuC+102], 16, 1              // Non-Nan case: store lsb of bf16
v_add3_u32 v6, v[vgprValuC+102], v6, v9            // Non-Nan case: add lsb and the increment for rounding
v_cndmask_b32 v[vgprValuC+102], v6, v8, s[52:53]   // 
v_lshrrev_b32 v[vgprValuC+102], 16, v[vgprValuC+102] // convert C to bf16
_buffer_store_b16 v102, v100, s[sgprSrdD:sgprSrdD+3], 0, offen, offset:0,  sc0 sc1 // store D
v_lshlrev_b32 v4, 16, v104                         // convert bf16 to fp32
_v_mac_f32 v[vgprValuC+105], v4, s[sgprBeta]       // finalSum = sum*alpha + C*beta
v_cmp_u_f32 s[52:53], v[vgprValuC+105], v[vgprValuC+105] // check Nan
v_bfe_u32 v6, v[vgprValuC+105], 16, 1              // Non-Nan case: store lsb of bf16
v_add3_u32 v6, v[vgprValuC+105], v6, v9            // Non-Nan case: add lsb and the increment for rounding
v_cndmask_b32 v[vgprValuC+105], v6, v8, s[52:53]   // 
v_lshrrev_b32 v[vgprValuC+105], 16, v[vgprValuC+105] // convert C to bf16
_buffer_store_b16 v105, v103, s[sgprSrdD:sgprSrdD+3], 0, offen, offset:0,  sc0 sc1 // store D
	;; [unrolled: 8-line block ×50, first 2 shown]
s_nop 0                                            // 1 wait state required when next inst writes vgprs held by previous dwordx4 store inst
/* optSingleColVgpr=0 optSharedColVgpr=0 optSGPRUsage=BufferLoad_Edge_Mask optSrdIncForRow=0 */
s_sleep 5 // optimization: sync and wait
s_barrier

/******************************************/
/* Global Write Alpha Beta Edge Batch #2 (d1,d0,vc1,vc0) = */
/*    (6,4,2,0:vw1); (6,5,2,0:vw1); (6,0,3,0:vw1); (6,1,3,0:vw1); (6,2,3,0:vw1); (6,3,3,0:vw1); (6,4,3,0:vw1); (6,5,3,0:vw1); (7,0,0,0:vw1); (7,1,0,0:vw1); (7,2,0,0:vw1); (7,3,0,0:vw1); (7,4,0,0:vw1); (7,5,0,0:vw1); (7,0,1,0:vw1); (7,1,1,0:vw1); (7,2,1,0:vw1); (7,3,1,0:vw1); (7,4,1,0:vw1); (7,5,1,0:vw1); (7,0,2,0:vw1); (7,1,2,0:vw1); (7,2,2,0:vw1); (7,3,2,0:vw1); (7,4,2,0:vw1); (7,5,2,0:vw1); (7,0,3,0:vw1); (7,1,3,0:vw1); (7,2,3,0:vw1); (7,3,3,0:vw1); (7,4,3,0:vw1); (7,5,3,0:vw1) */
/******************************************/

/* calc coords, apply mask, and issue loads (if necessary) */
/* (d1,vc1,d0,vc0)=(6,2,4,0) */
s_mov_b32 s52, 128                                 // coordOffset0 d0=4 vc0=0
_v_add_co_u32 v4, vcc, v0, s52                     // coord0.2: coord0 += d0*sg0*VW + vc0
v_cmp_lt_u32 s[52:53], v4, s[sgprSizeI]            // coord0 < size0
v_cmp_lt_u32 s[56:57], v1, s[sgprSizeJ]            // coord1 < size1
s_and_b64 s[56:57], s[52:53], s[56:57]             // in0 && in1
_v_add_lshl_u32 v10, v2, v4, 0x1                   // scaleToBpe: accumulate d0 lower and *= bpe into Cin addr
v_cndmask_b32 v10, -1, v10, s[56:57]               // LDC clip if OOB. offset
_buffer_load_d16_b16 v11, v10, s[sgprSrdC:sgprSrdC+3], 0, offen offset:0,  sc0 sc1 // load C for beta calc
_v_add_lshl_u32 v10, v3, v4, 0x1                   // scaleToBpe: accumulate d0 lower and *= bpe into Cin addr
v_cndmask_b32 v10, -1, v10, s[56:57]               // LDD clip if OOB. offset
/* (d1,vc1,d0,vc0)=(6,2,5,0) */
s_mov_b32 s52, 160                                 // coordOffset0 d0=5 vc0=0
_v_add_co_u32 v4, vcc, v0, s52                     // coord0.2: coord0 += d0*sg0*VW + vc0
v_cmp_lt_u32 s[52:53], v4, s[sgprSizeI]            // coord0 < size0
v_cmp_lt_u32 s[56:57], v1, s[sgprSizeJ]            // coord1 < size1
s_and_b64 s[56:57], s[52:53], s[56:57]             // in0 && in1
_v_add_lshl_u32 v13, v2, v4, 0x1                   // scaleToBpe: accumulate d0 lower and *= bpe into Cin addr
v_cndmask_b32 v13, -1, v13, s[56:57]               // LDC clip if OOB. offset
_buffer_load_d16_b16 v14, v13, s[sgprSrdC:sgprSrdC+3], 0, offen offset:0,  sc0 sc1 // load C for beta calc
_v_add_lshl_u32 v13, v3, v4, 0x1                   // scaleToBpe: accumulate d0 lower and *= bpe into Cin addr
v_cndmask_b32 v13, -1, v13, s[56:57]               // LDD clip if OOB. offset
/* (d1,vc1,d0,vc0)=(6,3,0,0) */
_v_add_co_u32 v1, vcc, v1, 1                       // coord1.1: coord1Vgpr += d1*sg1*VW + vc1

/* Fix for UseInitialStridesCD, emitAddressSetupCode */
_v_add_u32 v2, v2, s[sgprStrideC1J]                // ROWINC- Move cinRowPtr to next row
_v_add_u32 v3, v3, s[sgprStrideD1J]                // Move coutRowPtr to next row
v_cmp_lt_u32 s[52:53], v0, s[sgprSizeI]            // coord0 < size0
v_cmp_lt_u32 s[56:57], v1, s[sgprSizeJ]            // coord1 < size1
s_and_b64 s[56:57], s[52:53], s[56:57]             // in0 && in1
_v_add_lshl_u32 v16, v2, v0, 0x1                   // scaleToBpe: accumulate d0 lower and *= bpe into Cin addr
v_cndmask_b32 v16, -1, v16, s[56:57]               // LDC clip if OOB. offset
_buffer_load_d16_b16 v17, v16, s[sgprSrdC:sgprSrdC+3], 0, offen offset:0,  sc0 sc1 // load C for beta calc
_v_add_lshl_u32 v16, v3, v0, 0x1                   // scaleToBpe: accumulate d0 lower and *= bpe into Cin addr
v_cndmask_b32 v16, -1, v16, s[56:57]               // LDD clip if OOB. offset
/* (d1,vc1,d0,vc0)=(6,3,1,0) */
_v_add_co_u32 v4, vcc, v0, 32                      // coord0.1: coord0 += d0*sg0*VW + vc0
v_cmp_lt_u32 s[52:53], v4, s[sgprSizeI]            // coord0 < size0
v_cmp_lt_u32 s[56:57], v1, s[sgprSizeJ]            // coord1 < size1
s_and_b64 s[56:57], s[52:53], s[56:57]             // in0 && in1
_v_add_lshl_u32 v19, v2, v4, 0x1                   // scaleToBpe: accumulate d0 lower and *= bpe into Cin addr
v_cndmask_b32 v19, -1, v19, s[56:57]               // LDC clip if OOB. offset
_buffer_load_d16_b16 v20, v19, s[sgprSrdC:sgprSrdC+3], 0, offen offset:0,  sc0 sc1 // load C for beta calc
_v_add_lshl_u32 v19, v3, v4, 0x1                   // scaleToBpe: accumulate d0 lower and *= bpe into Cin addr
v_cndmask_b32 v19, -1, v19, s[56:57]               // LDD clip if OOB. offset
/* (d1,vc1,d0,vc0)=(6,3,2,0) */
_v_add_co_u32 v4, vcc, v0, 64                      // coord0.1: coord0 += d0*sg0*VW + vc0
v_cmp_lt_u32 s[52:53], v4, s[sgprSizeI]            // coord0 < size0
v_cmp_lt_u32 s[56:57], v1, s[sgprSizeJ]            // coord1 < size1
s_and_b64 s[56:57], s[52:53], s[56:57]             // in0 && in1
_v_add_lshl_u32 v22, v2, v4, 0x1                   // scaleToBpe: accumulate d0 lower and *= bpe into Cin addr
v_cndmask_b32 v22, -1, v22, s[56:57]               // LDC clip if OOB. offset
_buffer_load_d16_b16 v23, v22, s[sgprSrdC:sgprSrdC+3], 0, offen offset:0,  sc0 sc1 // load C for beta calc
_v_add_lshl_u32 v22, v3, v4, 0x1                   // scaleToBpe: accumulate d0 lower and *= bpe into Cin addr
v_cndmask_b32 v22, -1, v22, s[56:57]               // LDD clip if OOB. offset
/* (d1,vc1,d0,vc0)=(6,3,3,0) */
s_mov_b32 s52, 96                                  // coordOffset0 d0=3 vc0=0
_v_add_co_u32 v4, vcc, v0, s52                     // coord0.2: coord0 += d0*sg0*VW + vc0
v_cmp_lt_u32 s[52:53], v4, s[sgprSizeI]            // coord0 < size0
v_cmp_lt_u32 s[56:57], v1, s[sgprSizeJ]            // coord1 < size1
s_and_b64 s[56:57], s[52:53], s[56:57]             // in0 && in1
_v_add_lshl_u32 v25, v2, v4, 0x1                   // scaleToBpe: accumulate d0 lower and *= bpe into Cin addr
v_cndmask_b32 v25, -1, v25, s[56:57]               // LDC clip if OOB. offset
_buffer_load_d16_b16 v26, v25, s[sgprSrdC:sgprSrdC+3], 0, offen offset:0,  sc0 sc1 // load C for beta calc
_v_add_lshl_u32 v25, v3, v4, 0x1                   // scaleToBpe: accumulate d0 lower and *= bpe into Cin addr
v_cndmask_b32 v25, -1, v25, s[56:57]               // LDD clip if OOB. offset
/* (d1,vc1,d0,vc0)=(6,3,4,0) */
s_mov_b32 s52, 128                                 // coordOffset0 d0=4 vc0=0
_v_add_co_u32 v4, vcc, v0, s52                     // coord0.2: coord0 += d0*sg0*VW + vc0
v_cmp_lt_u32 s[52:53], v4, s[sgprSizeI]            // coord0 < size0
v_cmp_lt_u32 s[56:57], v1, s[sgprSizeJ]            // coord1 < size1
s_and_b64 s[56:57], s[52:53], s[56:57]             // in0 && in1
_v_add_lshl_u32 v28, v2, v4, 0x1                   // scaleToBpe: accumulate d0 lower and *= bpe into Cin addr
v_cndmask_b32 v28, -1, v28, s[56:57]               // LDC clip if OOB. offset
_buffer_load_d16_b16 v29, v28, s[sgprSrdC:sgprSrdC+3], 0, offen offset:0,  sc0 sc1 // load C for beta calc
_v_add_lshl_u32 v28, v3, v4, 0x1                   // scaleToBpe: accumulate d0 lower and *= bpe into Cin addr
v_cndmask_b32 v28, -1, v28, s[56:57]               // LDD clip if OOB. offset
/* (d1,vc1,d0,vc0)=(6,3,5,0) */
s_mov_b32 s52, 160                                 // coordOffset0 d0=5 vc0=0
_v_add_co_u32 v4, vcc, v0, s52                     // coord0.2: coord0 += d0*sg0*VW + vc0
v_cmp_lt_u32 s[52:53], v4, s[sgprSizeI]            // coord0 < size0
v_cmp_lt_u32 s[56:57], v1, s[sgprSizeJ]            // coord1 < size1
s_and_b64 s[56:57], s[52:53], s[56:57]             // in0 && in1
_v_add_lshl_u32 v31, v2, v4, 0x1                   // scaleToBpe: accumulate d0 lower and *= bpe into Cin addr
v_cndmask_b32 v31, -1, v31, s[56:57]               // LDC clip if OOB. offset
_buffer_load_d16_b16 v32, v31, s[sgprSrdC:sgprSrdC+3], 0, offen offset:0,  sc0 sc1 // load C for beta calc
_v_add_lshl_u32 v31, v3, v4, 0x1                   // scaleToBpe: accumulate d0 lower and *= bpe into Cin addr
v_cndmask_b32 v31, -1, v31, s[56:57]               // LDD clip if OOB. offset
/* (d1,vc1,d0,vc0)=(7,0,0,0) */
_v_add_co_u32 v1, vcc, v1, 29                      // coord1.1: coord1Vgpr += d1*sg1*VW + vc1

/* Fix for UseInitialStridesCD, emitAddressSetupCode */
s_mul_i32 s52, s[sgprStrideC1J], 29                // scale stride
_v_add_u32 v2, v2, s52                             // ROWINC- Move cinRowPtr to next row
s_mul_i32 s52, s[sgprStrideD1J], 29                // scale stride
_v_add_u32 v3, v3, s52                             // Move coutRowPtr to next row
v_cmp_lt_u32 s[52:53], v0, s[sgprSizeI]            // coord0 < size0
v_cmp_lt_u32 s[56:57], v1, s[sgprSizeJ]            // coord1 < size1
s_and_b64 s[56:57], s[52:53], s[56:57]             // in0 && in1
_v_add_lshl_u32 v34, v2, v0, 0x1                   // scaleToBpe: accumulate d0 lower and *= bpe into Cin addr
v_cndmask_b32 v34, -1, v34, s[56:57]               // LDC clip if OOB. offset
_buffer_load_d16_b16 v35, v34, s[sgprSrdC:sgprSrdC+3], 0, offen offset:0,  sc0 sc1 // load C for beta calc
_v_add_lshl_u32 v34, v3, v0, 0x1                   // scaleToBpe: accumulate d0 lower and *= bpe into Cin addr
v_cndmask_b32 v34, -1, v34, s[56:57]               // LDD clip if OOB. offset
/* (d1,vc1,d0,vc0)=(7,0,1,0) */
_v_add_co_u32 v4, vcc, v0, 32                      // coord0.1: coord0 += d0*sg0*VW + vc0
v_cmp_lt_u32 s[52:53], v4, s[sgprSizeI]            // coord0 < size0
v_cmp_lt_u32 s[56:57], v1, s[sgprSizeJ]            // coord1 < size1
s_and_b64 s[56:57], s[52:53], s[56:57]             // in0 && in1
_v_add_lshl_u32 v37, v2, v4, 0x1                   // scaleToBpe: accumulate d0 lower and *= bpe into Cin addr
v_cndmask_b32 v37, -1, v37, s[56:57]               // LDC clip if OOB. offset
_buffer_load_d16_b16 v38, v37, s[sgprSrdC:sgprSrdC+3], 0, offen offset:0,  sc0 sc1 // load C for beta calc
_v_add_lshl_u32 v37, v3, v4, 0x1                   // scaleToBpe: accumulate d0 lower and *= bpe into Cin addr
v_cndmask_b32 v37, -1, v37, s[56:57]               // LDD clip if OOB. offset
/* (d1,vc1,d0,vc0)=(7,0,2,0) */
_v_add_co_u32 v4, vcc, v0, 64                      // coord0.1: coord0 += d0*sg0*VW + vc0
v_cmp_lt_u32 s[52:53], v4, s[sgprSizeI]            // coord0 < size0
v_cmp_lt_u32 s[56:57], v1, s[sgprSizeJ]            // coord1 < size1
s_and_b64 s[56:57], s[52:53], s[56:57]             // in0 && in1
_v_add_lshl_u32 v40, v2, v4, 0x1                   // scaleToBpe: accumulate d0 lower and *= bpe into Cin addr
v_cndmask_b32 v40, -1, v40, s[56:57]               // LDC clip if OOB. offset
_buffer_load_d16_b16 v41, v40, s[sgprSrdC:sgprSrdC+3], 0, offen offset:0,  sc0 sc1 // load C for beta calc
_v_add_lshl_u32 v40, v3, v4, 0x1                   // scaleToBpe: accumulate d0 lower and *= bpe into Cin addr
v_cndmask_b32 v40, -1, v40, s[56:57]               // LDD clip if OOB. offset
/* (d1,vc1,d0,vc0)=(7,0,3,0) */
s_mov_b32 s52, 96                                  // coordOffset0 d0=3 vc0=0
_v_add_co_u32 v4, vcc, v0, s52                     // coord0.2: coord0 += d0*sg0*VW + vc0
v_cmp_lt_u32 s[52:53], v4, s[sgprSizeI]            // coord0 < size0
v_cmp_lt_u32 s[56:57], v1, s[sgprSizeJ]            // coord1 < size1
s_and_b64 s[56:57], s[52:53], s[56:57]             // in0 && in1
_v_add_lshl_u32 v43, v2, v4, 0x1                   // scaleToBpe: accumulate d0 lower and *= bpe into Cin addr
v_cndmask_b32 v43, -1, v43, s[56:57]               // LDC clip if OOB. offset
_buffer_load_d16_b16 v44, v43, s[sgprSrdC:sgprSrdC+3], 0, offen offset:0,  sc0 sc1 // load C for beta calc
_v_add_lshl_u32 v43, v3, v4, 0x1                   // scaleToBpe: accumulate d0 lower and *= bpe into Cin addr
v_cndmask_b32 v43, -1, v43, s[56:57]               // LDD clip if OOB. offset
/* (d1,vc1,d0,vc0)=(7,0,4,0) */
s_mov_b32 s52, 128                                 // coordOffset0 d0=4 vc0=0
_v_add_co_u32 v4, vcc, v0, s52                     // coord0.2: coord0 += d0*sg0*VW + vc0
v_cmp_lt_u32 s[52:53], v4, s[sgprSizeI]            // coord0 < size0
v_cmp_lt_u32 s[56:57], v1, s[sgprSizeJ]            // coord1 < size1
s_and_b64 s[56:57], s[52:53], s[56:57]             // in0 && in1
_v_add_lshl_u32 v46, v2, v4, 0x1                   // scaleToBpe: accumulate d0 lower and *= bpe into Cin addr
v_cndmask_b32 v46, -1, v46, s[56:57]               // LDC clip if OOB. offset
_buffer_load_d16_b16 v47, v46, s[sgprSrdC:sgprSrdC+3], 0, offen offset:0,  sc0 sc1 // load C for beta calc
_v_add_lshl_u32 v46, v3, v4, 0x1                   // scaleToBpe: accumulate d0 lower and *= bpe into Cin addr
v_cndmask_b32 v46, -1, v46, s[56:57]               // LDD clip if OOB. offset
/* (d1,vc1,d0,vc0)=(7,0,5,0) */
s_mov_b32 s52, 160                                 // coordOffset0 d0=5 vc0=0
_v_add_co_u32 v4, vcc, v0, s52                     // coord0.2: coord0 += d0*sg0*VW + vc0
v_cmp_lt_u32 s[52:53], v4, s[sgprSizeI]            // coord0 < size0
v_cmp_lt_u32 s[56:57], v1, s[sgprSizeJ]            // coord1 < size1
s_and_b64 s[56:57], s[52:53], s[56:57]             // in0 && in1
_v_add_lshl_u32 v49, v2, v4, 0x1                   // scaleToBpe: accumulate d0 lower and *= bpe into Cin addr
v_cndmask_b32 v49, -1, v49, s[56:57]               // LDC clip if OOB. offset
_buffer_load_d16_b16 v50, v49, s[sgprSrdC:sgprSrdC+3], 0, offen offset:0,  sc0 sc1 // load C for beta calc
_v_add_lshl_u32 v49, v3, v4, 0x1                   // scaleToBpe: accumulate d0 lower and *= bpe into Cin addr
v_cndmask_b32 v49, -1, v49, s[56:57]               // LDD clip if OOB. offset
/* (d1,vc1,d0,vc0)=(7,1,0,0) */
_v_add_co_u32 v1, vcc, v1, 1                       // coord1.1: coord1Vgpr += d1*sg1*VW + vc1

/* Fix for UseInitialStridesCD, emitAddressSetupCode */
_v_add_u32 v2, v2, s[sgprStrideC1J]                // ROWINC- Move cinRowPtr to next row
_v_add_u32 v3, v3, s[sgprStrideD1J]                // Move coutRowPtr to next row
v_cmp_lt_u32 s[52:53], v0, s[sgprSizeI]            // coord0 < size0
v_cmp_lt_u32 s[56:57], v1, s[sgprSizeJ]            // coord1 < size1
s_and_b64 s[56:57], s[52:53], s[56:57]             // in0 && in1
_v_add_lshl_u32 v52, v2, v0, 0x1                   // scaleToBpe: accumulate d0 lower and *= bpe into Cin addr
v_cndmask_b32 v52, -1, v52, s[56:57]               // LDC clip if OOB. offset
_buffer_load_d16_b16 v53, v52, s[sgprSrdC:sgprSrdC+3], 0, offen offset:0,  sc0 sc1 // load C for beta calc
_v_add_lshl_u32 v52, v3, v0, 0x1                   // scaleToBpe: accumulate d0 lower and *= bpe into Cin addr
v_cndmask_b32 v52, -1, v52, s[56:57]               // LDD clip if OOB. offset
/* (d1,vc1,d0,vc0)=(7,1,1,0) */
_v_add_co_u32 v4, vcc, v0, 32                      // coord0.1: coord0 += d0*sg0*VW + vc0
v_cmp_lt_u32 s[52:53], v4, s[sgprSizeI]            // coord0 < size0
v_cmp_lt_u32 s[56:57], v1, s[sgprSizeJ]            // coord1 < size1
s_and_b64 s[56:57], s[52:53], s[56:57]             // in0 && in1
_v_add_lshl_u32 v55, v2, v4, 0x1                   // scaleToBpe: accumulate d0 lower and *= bpe into Cin addr
v_cndmask_b32 v55, -1, v55, s[56:57]               // LDC clip if OOB. offset
_buffer_load_d16_b16 v56, v55, s[sgprSrdC:sgprSrdC+3], 0, offen offset:0,  sc0 sc1 // load C for beta calc
_v_add_lshl_u32 v55, v3, v4, 0x1                   // scaleToBpe: accumulate d0 lower and *= bpe into Cin addr
v_cndmask_b32 v55, -1, v55, s[56:57]               // LDD clip if OOB. offset
/* (d1,vc1,d0,vc0)=(7,1,2,0) */
_v_add_co_u32 v4, vcc, v0, 64                      // coord0.1: coord0 += d0*sg0*VW + vc0
v_cmp_lt_u32 s[52:53], v4, s[sgprSizeI]            // coord0 < size0
v_cmp_lt_u32 s[56:57], v1, s[sgprSizeJ]            // coord1 < size1
s_and_b64 s[56:57], s[52:53], s[56:57]             // in0 && in1
_v_add_lshl_u32 v58, v2, v4, 0x1                   // scaleToBpe: accumulate d0 lower and *= bpe into Cin addr
v_cndmask_b32 v58, -1, v58, s[56:57]               // LDC clip if OOB. offset
_buffer_load_d16_b16 v59, v58, s[sgprSrdC:sgprSrdC+3], 0, offen offset:0,  sc0 sc1 // load C for beta calc
_v_add_lshl_u32 v58, v3, v4, 0x1                   // scaleToBpe: accumulate d0 lower and *= bpe into Cin addr
v_cndmask_b32 v58, -1, v58, s[56:57]               // LDD clip if OOB. offset
/* (d1,vc1,d0,vc0)=(7,1,3,0) */
s_mov_b32 s52, 96                                  // coordOffset0 d0=3 vc0=0
_v_add_co_u32 v4, vcc, v0, s52                     // coord0.2: coord0 += d0*sg0*VW + vc0
v_cmp_lt_u32 s[52:53], v4, s[sgprSizeI]            // coord0 < size0
v_cmp_lt_u32 s[56:57], v1, s[sgprSizeJ]            // coord1 < size1
s_and_b64 s[56:57], s[52:53], s[56:57]             // in0 && in1
_v_add_lshl_u32 v61, v2, v4, 0x1                   // scaleToBpe: accumulate d0 lower and *= bpe into Cin addr
v_cndmask_b32 v61, -1, v61, s[56:57]               // LDC clip if OOB. offset
_buffer_load_d16_b16 v62, v61, s[sgprSrdC:sgprSrdC+3], 0, offen offset:0,  sc0 sc1 // load C for beta calc
_v_add_lshl_u32 v61, v3, v4, 0x1                   // scaleToBpe: accumulate d0 lower and *= bpe into Cin addr
v_cndmask_b32 v61, -1, v61, s[56:57]               // LDD clip if OOB. offset
/* (d1,vc1,d0,vc0)=(7,1,4,0) */
s_mov_b32 s52, 128                                 // coordOffset0 d0=4 vc0=0
_v_add_co_u32 v4, vcc, v0, s52                     // coord0.2: coord0 += d0*sg0*VW + vc0
v_cmp_lt_u32 s[52:53], v4, s[sgprSizeI]            // coord0 < size0
v_cmp_lt_u32 s[56:57], v1, s[sgprSizeJ]            // coord1 < size1
s_and_b64 s[56:57], s[52:53], s[56:57]             // in0 && in1
_v_add_lshl_u32 v64, v2, v4, 0x1                   // scaleToBpe: accumulate d0 lower and *= bpe into Cin addr
v_cndmask_b32 v64, -1, v64, s[56:57]               // LDC clip if OOB. offset
_buffer_load_d16_b16 v65, v64, s[sgprSrdC:sgprSrdC+3], 0, offen offset:0,  sc0 sc1 // load C for beta calc
_v_add_lshl_u32 v64, v3, v4, 0x1                   // scaleToBpe: accumulate d0 lower and *= bpe into Cin addr
v_cndmask_b32 v64, -1, v64, s[56:57]               // LDD clip if OOB. offset
/* (d1,vc1,d0,vc0)=(7,1,5,0) */
s_mov_b32 s52, 160                                 // coordOffset0 d0=5 vc0=0
_v_add_co_u32 v4, vcc, v0, s52                     // coord0.2: coord0 += d0*sg0*VW + vc0
v_cmp_lt_u32 s[52:53], v4, s[sgprSizeI]            // coord0 < size0
v_cmp_lt_u32 s[56:57], v1, s[sgprSizeJ]            // coord1 < size1
s_and_b64 s[56:57], s[52:53], s[56:57]             // in0 && in1
_v_add_lshl_u32 v67, v2, v4, 0x1                   // scaleToBpe: accumulate d0 lower and *= bpe into Cin addr
v_cndmask_b32 v67, -1, v67, s[56:57]               // LDC clip if OOB. offset
_buffer_load_d16_b16 v68, v67, s[sgprSrdC:sgprSrdC+3], 0, offen offset:0,  sc0 sc1 // load C for beta calc
_v_add_lshl_u32 v67, v3, v4, 0x1                   // scaleToBpe: accumulate d0 lower and *= bpe into Cin addr
v_cndmask_b32 v67, -1, v67, s[56:57]               // LDD clip if OOB. offset
/* (d1,vc1,d0,vc0)=(7,2,0,0) */
_v_add_co_u32 v1, vcc, v1, 1                       // coord1.1: coord1Vgpr += d1*sg1*VW + vc1

/* Fix for UseInitialStridesCD, emitAddressSetupCode */
_v_add_u32 v2, v2, s[sgprStrideC1J]                // ROWINC- Move cinRowPtr to next row
_v_add_u32 v3, v3, s[sgprStrideD1J]                // Move coutRowPtr to next row
v_cmp_lt_u32 s[52:53], v0, s[sgprSizeI]            // coord0 < size0
v_cmp_lt_u32 s[56:57], v1, s[sgprSizeJ]            // coord1 < size1
s_and_b64 s[56:57], s[52:53], s[56:57]             // in0 && in1
_v_add_lshl_u32 v70, v2, v0, 0x1                   // scaleToBpe: accumulate d0 lower and *= bpe into Cin addr
v_cndmask_b32 v70, -1, v70, s[56:57]               // LDC clip if OOB. offset
_buffer_load_d16_b16 v71, v70, s[sgprSrdC:sgprSrdC+3], 0, offen offset:0,  sc0 sc1 // load C for beta calc
_v_add_lshl_u32 v70, v3, v0, 0x1                   // scaleToBpe: accumulate d0 lower and *= bpe into Cin addr
v_cndmask_b32 v70, -1, v70, s[56:57]               // LDD clip if OOB. offset
/* (d1,vc1,d0,vc0)=(7,2,1,0) */
_v_add_co_u32 v4, vcc, v0, 32                      // coord0.1: coord0 += d0*sg0*VW + vc0
v_cmp_lt_u32 s[52:53], v4, s[sgprSizeI]            // coord0 < size0
v_cmp_lt_u32 s[56:57], v1, s[sgprSizeJ]            // coord1 < size1
s_and_b64 s[56:57], s[52:53], s[56:57]             // in0 && in1
_v_add_lshl_u32 v73, v2, v4, 0x1                   // scaleToBpe: accumulate d0 lower and *= bpe into Cin addr
v_cndmask_b32 v73, -1, v73, s[56:57]               // LDC clip if OOB. offset
_buffer_load_d16_b16 v74, v73, s[sgprSrdC:sgprSrdC+3], 0, offen offset:0,  sc0 sc1 // load C for beta calc
_v_add_lshl_u32 v73, v3, v4, 0x1                   // scaleToBpe: accumulate d0 lower and *= bpe into Cin addr
v_cndmask_b32 v73, -1, v73, s[56:57]               // LDD clip if OOB. offset
/* (d1,vc1,d0,vc0)=(7,2,2,0) */
_v_add_co_u32 v4, vcc, v0, 64                      // coord0.1: coord0 += d0*sg0*VW + vc0
v_cmp_lt_u32 s[52:53], v4, s[sgprSizeI]            // coord0 < size0
v_cmp_lt_u32 s[56:57], v1, s[sgprSizeJ]            // coord1 < size1
s_and_b64 s[56:57], s[52:53], s[56:57]             // in0 && in1
_v_add_lshl_u32 v76, v2, v4, 0x1                   // scaleToBpe: accumulate d0 lower and *= bpe into Cin addr
v_cndmask_b32 v76, -1, v76, s[56:57]               // LDC clip if OOB. offset
_buffer_load_d16_b16 v77, v76, s[sgprSrdC:sgprSrdC+3], 0, offen offset:0,  sc0 sc1 // load C for beta calc
_v_add_lshl_u32 v76, v3, v4, 0x1                   // scaleToBpe: accumulate d0 lower and *= bpe into Cin addr
v_cndmask_b32 v76, -1, v76, s[56:57]               // LDD clip if OOB. offset
/* (d1,vc1,d0,vc0)=(7,2,3,0) */
s_mov_b32 s52, 96                                  // coordOffset0 d0=3 vc0=0
_v_add_co_u32 v4, vcc, v0, s52                     // coord0.2: coord0 += d0*sg0*VW + vc0
v_cmp_lt_u32 s[52:53], v4, s[sgprSizeI]            // coord0 < size0
v_cmp_lt_u32 s[56:57], v1, s[sgprSizeJ]            // coord1 < size1
s_and_b64 s[56:57], s[52:53], s[56:57]             // in0 && in1
_v_add_lshl_u32 v79, v2, v4, 0x1                   // scaleToBpe: accumulate d0 lower and *= bpe into Cin addr
v_cndmask_b32 v79, -1, v79, s[56:57]               // LDC clip if OOB. offset
_buffer_load_d16_b16 v80, v79, s[sgprSrdC:sgprSrdC+3], 0, offen offset:0,  sc0 sc1 // load C for beta calc
_v_add_lshl_u32 v79, v3, v4, 0x1                   // scaleToBpe: accumulate d0 lower and *= bpe into Cin addr
v_cndmask_b32 v79, -1, v79, s[56:57]               // LDD clip if OOB. offset
/* (d1,vc1,d0,vc0)=(7,2,4,0) */
s_mov_b32 s52, 128                                 // coordOffset0 d0=4 vc0=0
_v_add_co_u32 v4, vcc, v0, s52                     // coord0.2: coord0 += d0*sg0*VW + vc0
v_cmp_lt_u32 s[52:53], v4, s[sgprSizeI]            // coord0 < size0
v_cmp_lt_u32 s[56:57], v1, s[sgprSizeJ]            // coord1 < size1
s_and_b64 s[56:57], s[52:53], s[56:57]             // in0 && in1
_v_add_lshl_u32 v82, v2, v4, 0x1                   // scaleToBpe: accumulate d0 lower and *= bpe into Cin addr
v_cndmask_b32 v82, -1, v82, s[56:57]               // LDC clip if OOB. offset
_buffer_load_d16_b16 v83, v82, s[sgprSrdC:sgprSrdC+3], 0, offen offset:0,  sc0 sc1 // load C for beta calc
_v_add_lshl_u32 v82, v3, v4, 0x1                   // scaleToBpe: accumulate d0 lower and *= bpe into Cin addr
v_cndmask_b32 v82, -1, v82, s[56:57]               // LDD clip if OOB. offset
/* (d1,vc1,d0,vc0)=(7,2,5,0) */
s_mov_b32 s52, 160                                 // coordOffset0 d0=5 vc0=0
_v_add_co_u32 v4, vcc, v0, s52                     // coord0.2: coord0 += d0*sg0*VW + vc0
v_cmp_lt_u32 s[52:53], v4, s[sgprSizeI]            // coord0 < size0
v_cmp_lt_u32 s[56:57], v1, s[sgprSizeJ]            // coord1 < size1
s_and_b64 s[56:57], s[52:53], s[56:57]             // in0 && in1
_v_add_lshl_u32 v85, v2, v4, 0x1                   // scaleToBpe: accumulate d0 lower and *= bpe into Cin addr
v_cndmask_b32 v85, -1, v85, s[56:57]               // LDC clip if OOB. offset
_buffer_load_d16_b16 v86, v85, s[sgprSrdC:sgprSrdC+3], 0, offen offset:0,  sc0 sc1 // load C for beta calc
_v_add_lshl_u32 v85, v3, v4, 0x1                   // scaleToBpe: accumulate d0 lower and *= bpe into Cin addr
v_cndmask_b32 v85, -1, v85, s[56:57]               // LDD clip if OOB. offset
/* (d1,vc1,d0,vc0)=(7,3,0,0) */
_v_add_co_u32 v1, vcc, v1, 1                       // coord1.1: coord1Vgpr += d1*sg1*VW + vc1

/* Fix for UseInitialStridesCD, emitAddressSetupCode */
_v_add_u32 v2, v2, s[sgprStrideC1J]                // ROWINC- Move cinRowPtr to next row
_v_add_u32 v3, v3, s[sgprStrideD1J]                // Move coutRowPtr to next row
v_cmp_lt_u32 s[52:53], v0, s[sgprSizeI]            // coord0 < size0
v_cmp_lt_u32 s[56:57], v1, s[sgprSizeJ]            // coord1 < size1
s_and_b64 s[56:57], s[52:53], s[56:57]             // in0 && in1
_v_add_lshl_u32 v88, v2, v0, 0x1                   // scaleToBpe: accumulate d0 lower and *= bpe into Cin addr
v_cndmask_b32 v88, -1, v88, s[56:57]               // LDC clip if OOB. offset
_buffer_load_d16_b16 v89, v88, s[sgprSrdC:sgprSrdC+3], 0, offen offset:0,  sc0 sc1 // load C for beta calc
_v_add_lshl_u32 v88, v3, v0, 0x1                   // scaleToBpe: accumulate d0 lower and *= bpe into Cin addr
v_cndmask_b32 v88, -1, v88, s[56:57]               // LDD clip if OOB. offset
/* (d1,vc1,d0,vc0)=(7,3,1,0) */
_v_add_co_u32 v4, vcc, v0, 32                      // coord0.1: coord0 += d0*sg0*VW + vc0
v_cmp_lt_u32 s[52:53], v4, s[sgprSizeI]            // coord0 < size0
v_cmp_lt_u32 s[56:57], v1, s[sgprSizeJ]            // coord1 < size1
s_and_b64 s[56:57], s[52:53], s[56:57]             // in0 && in1
_v_add_lshl_u32 v91, v2, v4, 0x1                   // scaleToBpe: accumulate d0 lower and *= bpe into Cin addr
v_cndmask_b32 v91, -1, v91, s[56:57]               // LDC clip if OOB. offset
_buffer_load_d16_b16 v92, v91, s[sgprSrdC:sgprSrdC+3], 0, offen offset:0,  sc0 sc1 // load C for beta calc
_v_add_lshl_u32 v91, v3, v4, 0x1                   // scaleToBpe: accumulate d0 lower and *= bpe into Cin addr
v_cndmask_b32 v91, -1, v91, s[56:57]               // LDD clip if OOB. offset
/* (d1,vc1,d0,vc0)=(7,3,2,0) */
_v_add_co_u32 v4, vcc, v0, 64                      // coord0.1: coord0 += d0*sg0*VW + vc0
v_cmp_lt_u32 s[52:53], v4, s[sgprSizeI]            // coord0 < size0
v_cmp_lt_u32 s[56:57], v1, s[sgprSizeJ]            // coord1 < size1
s_and_b64 s[56:57], s[52:53], s[56:57]             // in0 && in1
_v_add_lshl_u32 v94, v2, v4, 0x1                   // scaleToBpe: accumulate d0 lower and *= bpe into Cin addr
v_cndmask_b32 v94, -1, v94, s[56:57]               // LDC clip if OOB. offset
_buffer_load_d16_b16 v95, v94, s[sgprSrdC:sgprSrdC+3], 0, offen offset:0,  sc0 sc1 // load C for beta calc
_v_add_lshl_u32 v94, v3, v4, 0x1                   // scaleToBpe: accumulate d0 lower and *= bpe into Cin addr
v_cndmask_b32 v94, -1, v94, s[56:57]               // LDD clip if OOB. offset
/* (d1,vc1,d0,vc0)=(7,3,3,0) */
s_mov_b32 s52, 96                                  // coordOffset0 d0=3 vc0=0
_v_add_co_u32 v4, vcc, v0, s52                     // coord0.2: coord0 += d0*sg0*VW + vc0
v_cmp_lt_u32 s[52:53], v4, s[sgprSizeI]            // coord0 < size0
v_cmp_lt_u32 s[56:57], v1, s[sgprSizeJ]            // coord1 < size1
s_and_b64 s[56:57], s[52:53], s[56:57]             // in0 && in1
_v_add_lshl_u32 v97, v2, v4, 0x1                   // scaleToBpe: accumulate d0 lower and *= bpe into Cin addr
v_cndmask_b32 v97, -1, v97, s[56:57]               // LDC clip if OOB. offset
_buffer_load_d16_b16 v98, v97, s[sgprSrdC:sgprSrdC+3], 0, offen offset:0,  sc0 sc1 // load C for beta calc
_v_add_lshl_u32 v97, v3, v4, 0x1                   // scaleToBpe: accumulate d0 lower and *= bpe into Cin addr
v_cndmask_b32 v97, -1, v97, s[56:57]               // LDD clip if OOB. offset
/* (d1,vc1,d0,vc0)=(7,3,4,0) */
s_mov_b32 s52, 128                                 // coordOffset0 d0=4 vc0=0
_v_add_co_u32 v4, vcc, v0, s52                     // coord0.2: coord0 += d0*sg0*VW + vc0
v_cmp_lt_u32 s[52:53], v4, s[sgprSizeI]            // coord0 < size0
v_cmp_lt_u32 s[56:57], v1, s[sgprSizeJ]            // coord1 < size1
s_and_b64 s[56:57], s[52:53], s[56:57]             // in0 && in1
_v_add_lshl_u32 v100, v2, v4, 0x1                  // scaleToBpe: accumulate d0 lower and *= bpe into Cin addr
v_cndmask_b32 v100, -1, v100, s[56:57]             // LDC clip if OOB. offset
_buffer_load_d16_b16 v101, v100, s[sgprSrdC:sgprSrdC+3], 0, offen offset:0,  sc0 sc1 // load C for beta calc
_v_add_lshl_u32 v100, v3, v4, 0x1                  // scaleToBpe: accumulate d0 lower and *= bpe into Cin addr
v_cndmask_b32 v100, -1, v100, s[56:57]             // LDD clip if OOB. offset
/* (d1,vc1,d0,vc0)=(7,3,5,0) */
s_mov_b32 s52, 160                                 // coordOffset0 d0=5 vc0=0
_v_add_co_u32 v4, vcc, v0, s52                     // coord0.2: coord0 += d0*sg0*VW + vc0
v_cmp_lt_u32 s[52:53], v4, s[sgprSizeI]            // coord0 < size0
v_cmp_lt_u32 s[56:57], v1, s[sgprSizeJ]            // coord1 < size1
s_and_b64 s[56:57], s[52:53], s[56:57]             // in0 && in1
_v_add_lshl_u32 v103, v2, v4, 0x1                  // scaleToBpe: accumulate d0 lower and *= bpe into Cin addr
v_cndmask_b32 v103, -1, v103, s[56:57]             // LDC clip if OOB. offset
_buffer_load_d16_b16 v104, v103, s[sgprSrdC:sgprSrdC+3], 0, offen offset:0,  sc0 sc1 // load C for beta calc
_v_add_lshl_u32 v103, v3, v4, 0x1                  // scaleToBpe: accumulate d0 lower and *= bpe into Cin addr
v_cndmask_b32 v103, -1, v103, s[56:57]             // LDD clip if OOB. offset
s_sleep 5 // optimization: sync and wait
s_barrier
v_accvgpr_read_b32 v[vgprValuC+12], acc162 // copy acc to vreg[160]
v_accvgpr_read_b32 v[vgprValuC+15], acc166 // copy acc to vreg[161]
v_accvgpr_read_b32 v[vgprValuC+18], acc147 // copy acc to vreg[162]
v_accvgpr_read_b32 v[vgprValuC+21], acc151 // copy acc to vreg[163]
v_accvgpr_read_b32 v[vgprValuC+24], acc155 // copy acc to vreg[164]
v_accvgpr_read_b32 v[vgprValuC+27], acc159 // copy acc to vreg[165]
v_accvgpr_read_b32 v[vgprValuC+30], acc163 // copy acc to vreg[166]
v_accvgpr_read_b32 v[vgprValuC+33], acc167 // copy acc to vreg[167]
v_accvgpr_read_b32 v[vgprValuC+36], acc168 // copy acc to vreg[168]
v_accvgpr_read_b32 v[vgprValuC+39], acc172 // copy acc to vreg[169]
v_accvgpr_read_b32 v[vgprValuC+42], acc176 // copy acc to vreg[170]
v_accvgpr_read_b32 v[vgprValuC+45], acc180 // copy acc to vreg[171]
v_accvgpr_read_b32 v[vgprValuC+48], acc184 // copy acc to vreg[172]
v_accvgpr_read_b32 v[vgprValuC+51], acc188 // copy acc to vreg[173]
v_accvgpr_read_b32 v[vgprValuC+54], acc169 // copy acc to vreg[174]
v_accvgpr_read_b32 v[vgprValuC+57], acc173 // copy acc to vreg[175]
v_accvgpr_read_b32 v[vgprValuC+60], acc177 // copy acc to vreg[176]
v_accvgpr_read_b32 v[vgprValuC+63], acc181 // copy acc to vreg[177]
v_accvgpr_read_b32 v[vgprValuC+66], acc185 // copy acc to vreg[178]
v_accvgpr_read_b32 v[vgprValuC+69], acc189 // copy acc to vreg[179]
v_accvgpr_read_b32 v[vgprValuC+72], acc170 // copy acc to vreg[180]
v_accvgpr_read_b32 v[vgprValuC+75], acc174 // copy acc to vreg[181]
v_accvgpr_read_b32 v[vgprValuC+78], acc178 // copy acc to vreg[182]
v_accvgpr_read_b32 v[vgprValuC+81], acc182 // copy acc to vreg[183]
v_accvgpr_read_b32 v[vgprValuC+84], acc186 // copy acc to vreg[184]
v_accvgpr_read_b32 v[vgprValuC+87], acc190 // copy acc to vreg[185]
v_accvgpr_read_b32 v[vgprValuC+90], acc171 // copy acc to vreg[186]
v_accvgpr_read_b32 v[vgprValuC+93], acc175 // copy acc to vreg[187]
v_accvgpr_read_b32 v[vgprValuC+96], acc179 // copy acc to vreg[188]
v_accvgpr_read_b32 v[vgprValuC+99], acc183 // copy acc to vreg[189]
v_accvgpr_read_b32 v[vgprValuC+102], acc187 // copy acc to vreg[190]
v_accvgpr_read_b32 v[vgprValuC+105], acc191 // copy acc to vreg[191]
s_nop 1                                            // 2 wait states required before reading vgpr

/* rC *= alpha batchElements=[(6, 4, 2, 0), (6, 5, 2, 0), (6, 0, 3, 0), (6, 1, 3, 0), (6, 2, 3, 0), (6, 3, 3, 0), (6, 4, 3, 0), (6, 5, 3, 0), (7, 0, 0, 0), (7, 1, 0, 0), (7, 2, 0, 0), (7, 3, 0, 0), (7, 4, 0, 0), (7, 5, 0, 0), (7, 0, 1, 0), (7, 1, 1, 0), (7, 2, 1, 0), (7, 3, 1, 0), (7, 4, 1, 0), (7, 5, 1, 0), (7, 0, 2, 0), (7, 1, 2, 0), (7, 2, 2, 0), (7, 3, 2, 0), (7, 4, 2, 0), (7, 5, 2, 0), (7, 0, 3, 0), (7, 1, 3, 0), (7, 2, 3, 0), (7, 3, 3, 0), (7, 4, 3, 0), (7, 5, 3, 0)] */
v_mul_f32 v[vgprValuC+12], s[sgprAlpha], v[vgprValuC+12] // *= alpha
v_mul_f32 v[vgprValuC+15], s[sgprAlpha], v[vgprValuC+15] // *= alpha
	;; [unrolled: 1-line block ×32, first 2 shown]
s_waitcnt vmcnt(0)                                 // wait C

/* apply mask, calc new C and issue writes */
v_mov_b32 v7, 0xffff0000                           // mask for pack two bfloat16 element to 32bit
v_mov_b32 v8, 0x7fff0000                           // fp32 Nan
v_mov_b32 v9, 0x7fff                               // rounding bias for bfloat16
v_lshlrev_b32 v4, 16, v11                          // convert bf16 to fp32
_v_mac_f32 v[vgprValuC+12], v4, s[sgprBeta]        // finalSum = sum*alpha + C*beta
v_cmp_u_f32 s[52:53], v[vgprValuC+12], v[vgprValuC+12] // check Nan
v_bfe_u32 v6, v[vgprValuC+12], 16, 1               // Non-Nan case: store lsb of bf16
v_add3_u32 v6, v[vgprValuC+12], v6, v9             // Non-Nan case: add lsb and the increment for rounding
v_cndmask_b32 v[vgprValuC+12], v6, v8, s[52:53]    // 
v_lshrrev_b32 v[vgprValuC+12], 16, v[vgprValuC+12] // convert C to bf16
_buffer_store_b16 v12, v10, s[sgprSrdD:sgprSrdD+3], 0, offen, offset:0,  sc0 sc1 // store D
v_lshlrev_b32 v4, 16, v14                          // convert bf16 to fp32
_v_mac_f32 v[vgprValuC+15], v4, s[sgprBeta]        // finalSum = sum*alpha + C*beta
v_cmp_u_f32 s[52:53], v[vgprValuC+15], v[vgprValuC+15] // check Nan
v_bfe_u32 v6, v[vgprValuC+15], 16, 1               // Non-Nan case: store lsb of bf16
v_add3_u32 v6, v[vgprValuC+15], v6, v9             // Non-Nan case: add lsb and the increment for rounding
v_cndmask_b32 v[vgprValuC+15], v6, v8, s[52:53]    // 
v_lshrrev_b32 v[vgprValuC+15], 16, v[vgprValuC+15] // convert C to bf16
_buffer_store_b16 v15, v13, s[sgprSrdD:sgprSrdD+3], 0, offen, offset:0,  sc0 sc1 // store D
	;; [unrolled: 8-line block ×30, first 2 shown]
v_lshlrev_b32 v4, 16, v101                         // convert bf16 to fp32
_v_mac_f32 v[vgprValuC+102], v4, s[sgprBeta]       // finalSum = sum*alpha + C*beta
v_cmp_u_f32 s[52:53], v[vgprValuC+102], v[vgprValuC+102] // check Nan
v_bfe_u32 v6, v[vgprValuC+102], 16, 1              // Non-Nan case: store lsb of bf16
v_add3_u32 v6, v[vgprValuC+102], v6, v9            // Non-Nan case: add lsb and the increment for rounding
v_cndmask_b32 v[vgprValuC+102], v6, v8, s[52:53]   // 
v_lshrrev_b32 v[vgprValuC+102], 16, v[vgprValuC+102] // convert C to bf16
_buffer_store_b16 v102, v100, s[sgprSrdD:sgprSrdD+3], 0, offen, offset:0,  sc0 sc1 // store D
v_lshlrev_b32 v4, 16, v104                         // convert bf16 to fp32
_v_mac_f32 v[vgprValuC+105], v4, s[sgprBeta]       // finalSum = sum*alpha + C*beta
v_cmp_u_f32 s[52:53], v[vgprValuC+105], v[vgprValuC+105] // check Nan
v_bfe_u32 v6, v[vgprValuC+105], 16, 1              // Non-Nan case: store lsb of bf16
v_add3_u32 v6, v[vgprValuC+105], v6, v9            // Non-Nan case: add lsb and the increment for rounding
v_cndmask_b32 v[vgprValuC+105], v6, v8, s[52:53]   // 
v_lshrrev_b32 v[vgprValuC+105], 16, v[vgprValuC+105] // convert C to bf16
_buffer_store_b16 v105, v103, s[sgprSrdD:sgprSrdD+3], 0, offen, offset:0,  sc0 sc1 // store D
s_nop 0                                            // 1 wait state required when next inst writes vgprs held by previous dwordx4 store inst
s_branch label_GW_End_44                           // jump to end
label_GW_End_44:

label_0049:  /// KernelEnd
s_endpgm                                           // Kernel End

